;; amdgpu-corpus repo=ROCm/rocFFT kind=compiled arch=gfx1030 opt=O3
	.text
	.amdgcn_target "amdgcn-amd-amdhsa--gfx1030"
	.amdhsa_code_object_version 6
	.protected	bluestein_single_back_len1950_dim1_dp_op_CI_CI ; -- Begin function bluestein_single_back_len1950_dim1_dp_op_CI_CI
	.globl	bluestein_single_back_len1950_dim1_dp_op_CI_CI
	.p2align	8
	.type	bluestein_single_back_len1950_dim1_dp_op_CI_CI,@function
bluestein_single_back_len1950_dim1_dp_op_CI_CI: ; @bluestein_single_back_len1950_dim1_dp_op_CI_CI
; %bb.0:
	v_mul_u32_u24_e32 v1, 0x151, v0
	s_mov_b64 s[50:51], s[2:3]
	s_mov_b64 s[48:49], s[0:1]
	s_load_dwordx4 s[0:3], s[4:5], 0x28
	s_add_u32 s48, s48, s7
	v_lshrrev_b32_e32 v1, 16, v1
	s_addc_u32 s49, s49, 0
	v_mov_b32_e32 v4, 0
	v_add_nc_u32_e32 v3, s6, v1
	v_mov_b32_e32 v2, v3
	buffer_store_dword v2, off, s[48:51], 0 ; 4-byte Folded Spill
	buffer_store_dword v3, off, s[48:51], 0 offset:4 ; 4-byte Folded Spill
	s_waitcnt lgkmcnt(0)
	v_cmp_gt_u64_e32 vcc_lo, s[0:1], v[3:4]
	s_and_saveexec_b32 s0, vcc_lo
	s_cbranch_execz .LBB0_23
; %bb.1:
	s_clause 0x1
	s_load_dwordx2 s[14:15], s[4:5], 0x0
	s_load_dwordx2 s[12:13], s[4:5], 0x38
	v_mul_lo_u16 v1, 0xc3, v1
	v_sub_nc_u16 v0, v0, v1
	v_and_b32_e32 v220, 0xffff, v0
	v_cmp_gt_u16_e32 vcc_lo, 0x96, v0
	v_lshlrev_b32_e32 v255, 4, v220
	s_and_saveexec_b32 s1, vcc_lo
	s_cbranch_execz .LBB0_3
; %bb.2:
	s_load_dwordx2 s[6:7], s[4:5], 0x18
	s_waitcnt lgkmcnt(0)
	global_load_dwordx4 v[0:3], v255, s[14:15]
	v_add_co_u32 v90, s0, s14, v255
	v_add_co_ci_u32_e64 v91, null, s15, 0, s0
	v_add_co_u32 v4, s0, 0x800, v90
	v_add_co_ci_u32_e64 v5, s0, 0, v91, s0
	v_add_co_u32 v8, s0, 0x1000, v90
	v_add_co_ci_u32_e64 v9, s0, 0, v91, s0
	;; [unrolled: 2-line block ×3, first 2 shown]
	v_add_co_u32 v16, s0, 0x2000, v90
	s_load_dwordx4 s[8:11], s[6:7], 0x0
	s_clause 0x1
	buffer_load_dword v6, off, s[48:51], 0
	buffer_load_dword v7, off, s[48:51], 0 offset:4
	v_add_co_ci_u32_e64 v17, s0, 0, v91, s0
	v_add_co_u32 v20, s0, 0x2800, v90
	v_add_co_ci_u32_e64 v21, s0, 0, v91, s0
	v_add_co_u32 v24, s0, 0x3800, v90
	;; [unrolled: 2-line block ×4, first 2 shown]
	v_add_co_ci_u32_e64 v33, s0, 0, v91, s0
	s_waitcnt lgkmcnt(0)
	v_mad_u64_u32 v[26:27], null, s8, v220, 0
	v_add_co_u32 v36, s0, 0x5000, v90
	v_add_co_ci_u32_e64 v37, s0, 0, v91, s0
	v_add_co_u32 v84, s0, 0x5800, v90
	s_waitcnt vmcnt(0)
	v_mov_b32_e32 v7, v27
	v_add_co_ci_u32_e64 v85, s0, 0, v91, s0
	s_mul_i32 s6, s9, 0x960
	s_mul_hi_u32 s7, s8, 0x960
	v_mad_u64_u32 v[30:31], null, s9, v220, v[7:8]
	s_add_i32 s7, s7, s6
	v_mov_b32_e32 v27, v30
	v_lshlrev_b64 v[26:27], 4, v[26:27]
	v_mov_b32_e32 v10, v6
	v_mad_u64_u32 v[22:23], null, s10, v10, 0
	v_mov_b32_e32 v6, v23
	v_mad_u64_u32 v[10:11], null, s11, v10, v[6:7]
	global_load_dwordx4 v[4:7], v[4:5], off offset:352
	v_mov_b32_e32 v23, v10
	s_clause 0x4
	global_load_dwordx4 v[8:11], v[8:9], off offset:704
	global_load_dwordx4 v[12:15], v[12:13], off offset:1056
	global_load_dwordx4 v[16:19], v[16:17], off offset:1408
	global_load_dwordx4 v[36:39], v[36:37], off offset:1120
	global_load_dwordx4 v[32:35], v[32:33], off offset:768
	v_lshlrev_b64 v[30:31], 4, v[22:23]
	global_load_dwordx4 v[20:23], v[20:21], off offset:1760
	v_add_co_u32 v30, s0, s2, v30
	v_add_co_ci_u32_e64 v31, s0, s3, v31, s0
	s_mul_i32 s2, s8, 0x960
	v_add_co_u32 v40, s0, v30, v26
	v_add_co_ci_u32_e64 v41, s0, v31, v27, s0
	global_load_dwordx4 v[24:27], v[24:25], off offset:64
	v_add_co_u32 v44, s0, v40, s2
	v_add_co_ci_u32_e64 v45, s0, s7, v41, s0
	global_load_dwordx4 v[28:31], v[28:29], off offset:416
	v_add_co_u32 v48, s0, v44, s2
	v_add_co_ci_u32_e64 v49, s0, s7, v45, s0
	s_clause 0x1
	global_load_dwordx4 v[40:43], v[40:41], off
	global_load_dwordx4 v[44:47], v[44:45], off
	v_add_co_u32 v52, s0, v48, s2
	v_add_co_ci_u32_e64 v53, s0, s7, v49, s0
	global_load_dwordx4 v[48:51], v[48:49], off
	v_add_co_u32 v56, s0, v52, s2
	v_add_co_ci_u32_e64 v57, s0, s7, v53, s0
	;; [unrolled: 3-line block ×5, first 2 shown]
	v_add_co_u32 v72, s0, v68, s2
	v_add_co_ci_u32_e64 v73, s0, s7, v69, s0
	v_add_co_u32 v76, s0, v72, s2
	v_add_co_ci_u32_e64 v77, s0, s7, v73, s0
	;; [unrolled: 2-line block ×3, first 2 shown]
	global_load_dwordx4 v[64:67], v[64:65], off
	global_load_dwordx4 v[68:71], v[68:69], off
	;; [unrolled: 1-line block ×5, first 2 shown]
	v_add_co_u32 v88, s0, v86, s2
	v_add_co_ci_u32_e64 v89, s0, s7, v87, s0
	v_add_co_u32 v92, s0, 0x6000, v90
	v_add_co_ci_u32_e64 v93, s0, 0, v91, s0
	;; [unrolled: 2-line block ×4, first 2 shown]
	global_load_dwordx4 v[84:87], v[84:85], off offset:1472
	global_load_dwordx4 v[88:91], v[88:89], off
	s_clause 0x1
	global_load_dwordx4 v[92:95], v[92:93], off offset:1824
	global_load_dwordx4 v[96:99], v[96:97], off offset:128
	global_load_dwordx4 v[100:103], v[100:101], off
	s_waitcnt vmcnt(15)
	v_mul_f64 v[104:105], v[42:43], v[2:3]
	v_mul_f64 v[2:3], v[40:41], v[2:3]
	s_waitcnt vmcnt(14)
	v_mul_f64 v[106:107], v[46:47], v[6:7]
	v_mul_f64 v[6:7], v[44:45], v[6:7]
	s_waitcnt vmcnt(13)
	v_mul_f64 v[108:109], v[50:51], v[10:11]
	v_mul_f64 v[10:11], v[48:49], v[10:11]
	s_waitcnt vmcnt(12)
	v_mul_f64 v[110:111], v[54:55], v[14:15]
	v_mul_f64 v[14:15], v[52:53], v[14:15]
	s_waitcnt vmcnt(11)
	v_mul_f64 v[112:113], v[58:59], v[18:19]
	v_mul_f64 v[18:19], v[56:57], v[18:19]
	v_fma_f64 v[40:41], v[40:41], v[0:1], v[104:105]
	s_waitcnt vmcnt(10)
	v_mul_f64 v[104:105], v[62:63], v[22:23]
	v_mul_f64 v[22:23], v[60:61], v[22:23]
	v_fma_f64 v[42:43], v[42:43], v[0:1], -v[2:3]
	v_fma_f64 v[0:1], v[44:45], v[4:5], v[106:107]
	v_fma_f64 v[2:3], v[46:47], v[4:5], -v[6:7]
	v_fma_f64 v[4:5], v[48:49], v[8:9], v[108:109]
	;; [unrolled: 2-line block ×3, first 2 shown]
	v_fma_f64 v[10:11], v[54:55], v[12:13], -v[14:15]
	s_waitcnt vmcnt(9)
	v_mul_f64 v[44:45], v[66:67], v[26:27]
	v_mul_f64 v[26:27], v[64:65], v[26:27]
	s_waitcnt vmcnt(8)
	v_mul_f64 v[46:47], v[70:71], v[30:31]
	v_mul_f64 v[30:31], v[68:69], v[30:31]
	s_waitcnt vmcnt(7)
	v_mul_f64 v[106:107], v[74:75], v[34:35]
	v_mul_f64 v[34:35], v[72:73], v[34:35]
	s_waitcnt vmcnt(6)
	v_mul_f64 v[114:115], v[78:79], v[38:39]
	v_mul_f64 v[38:39], v[76:77], v[38:39]
	v_fma_f64 v[12:13], v[56:57], v[16:17], v[112:113]
	v_fma_f64 v[14:15], v[58:59], v[16:17], -v[18:19]
	v_fma_f64 v[16:17], v[60:61], v[20:21], v[104:105]
	v_fma_f64 v[18:19], v[62:63], v[20:21], -v[22:23]
	s_waitcnt vmcnt(4)
	v_mul_f64 v[116:117], v[82:83], v[86:87]
	v_mul_f64 v[86:87], v[80:81], v[86:87]
	s_waitcnt vmcnt(2)
	v_mul_f64 v[118:119], v[90:91], v[94:95]
	v_mul_f64 v[94:95], v[88:89], v[94:95]
	s_waitcnt vmcnt(0)
	v_mul_f64 v[120:121], v[102:103], v[98:99]
	v_mul_f64 v[98:99], v[100:101], v[98:99]
	v_fma_f64 v[20:21], v[64:65], v[24:25], v[44:45]
	v_fma_f64 v[22:23], v[66:67], v[24:25], -v[26:27]
	v_fma_f64 v[24:25], v[68:69], v[28:29], v[46:47]
	v_fma_f64 v[26:27], v[70:71], v[28:29], -v[30:31]
	;; [unrolled: 2-line block ×7, first 2 shown]
	ds_write_b128 v255, v[40:43]
	ds_write_b128 v255, v[0:3] offset:2400
	ds_write_b128 v255, v[4:7] offset:4800
	;; [unrolled: 1-line block ×12, first 2 shown]
.LBB0_3:
	s_or_b32 exec_lo, exec_lo, s1
	s_clause 0x1
	s_load_dwordx2 s[0:1], s[4:5], 0x20
	s_load_dwordx2 s[2:3], s[4:5], 0x8
	s_waitcnt lgkmcnt(0)
	s_waitcnt_vscnt null, 0x0
	s_barrier
	buffer_gl0_inv
                                        ; implicit-def: $vgpr8_vgpr9
                                        ; implicit-def: $vgpr52_vgpr53
                                        ; implicit-def: $vgpr48_vgpr49
                                        ; implicit-def: $vgpr44_vgpr45
                                        ; implicit-def: $vgpr40_vgpr41
                                        ; implicit-def: $vgpr36_vgpr37
                                        ; implicit-def: $vgpr32_vgpr33
                                        ; implicit-def: $vgpr28_vgpr29
                                        ; implicit-def: $vgpr24_vgpr25
                                        ; implicit-def: $vgpr20_vgpr21
                                        ; implicit-def: $vgpr16_vgpr17
                                        ; implicit-def: $vgpr12_vgpr13
                                        ; implicit-def: $vgpr4_vgpr5
	s_and_saveexec_b32 s4, vcc_lo
	s_cbranch_execz .LBB0_5
; %bb.4:
	ds_read_b128 v[8:11], v255
	ds_read_b128 v[52:55], v255 offset:2400
	ds_read_b128 v[48:51], v255 offset:4800
	;; [unrolled: 1-line block ×12, first 2 shown]
.LBB0_5:
	s_or_b32 exec_lo, exec_lo, s4
	s_waitcnt lgkmcnt(0)
	v_add_f64 v[98:99], v[54:55], -v[6:7]
	v_add_f64 v[64:65], v[52:53], -v[4:5]
	s_mov_b32 s10, 0x4267c47c
	s_mov_b32 s4, 0x42a4c3d2
	;; [unrolled: 1-line block ×6, first 2 shown]
	v_add_f64 v[60:61], v[52:53], v[4:5]
	v_add_f64 v[96:97], v[54:55], v[6:7]
	v_add_f64 v[80:81], v[50:51], -v[14:15]
	v_add_f64 v[66:67], v[48:49], -v[12:13]
	s_mov_b32 s8, 0xe00740e9
	s_mov_b32 s6, 0x1ea71119
	;; [unrolled: 1-line block ×10, first 2 shown]
	v_mul_f64 v[74:75], v[98:99], s[10:11]
	v_mul_f64 v[78:79], v[64:65], s[10:11]
	v_mul_f64 v[165:166], v[98:99], s[4:5]
	v_mul_f64 v[173:174], v[64:65], s[4:5]
	v_mul_f64 v[181:182], v[98:99], s[16:17]
	v_mul_f64 v[183:184], v[64:65], s[16:17]
	v_add_f64 v[56:57], v[48:49], v[12:13]
	v_add_f64 v[58:59], v[50:51], v[14:15]
	v_add_f64 v[72:73], v[46:47], -v[18:19]
	v_add_f64 v[70:71], v[44:45], -v[16:17]
	v_mul_f64 v[116:117], v[80:81], s[4:5]
	v_mul_f64 v[126:127], v[66:67], s[4:5]
	;; [unrolled: 1-line block ×6, first 2 shown]
	s_mov_b32 s24, 0xb2365da1
	s_mov_b32 s26, 0x93053d00
	;; [unrolled: 1-line block ×6, first 2 shown]
	v_fma_f64 v[0:1], v[60:61], s[8:9], v[74:75]
	v_fma_f64 v[2:3], v[96:97], s[8:9], -v[78:79]
	v_fma_f64 v[88:89], v[60:61], s[6:7], v[165:166]
	v_fma_f64 v[102:103], v[96:97], s[6:7], -v[173:174]
	;; [unrolled: 2-line block ×3, first 2 shown]
	v_add_f64 v[62:63], v[44:45], v[16:17]
	v_add_f64 v[68:69], v[46:47], v[18:19]
	v_add_f64 v[92:93], v[40:41], -v[20:21]
	v_add_f64 v[84:85], v[42:43], -v[22:23]
	v_mul_f64 v[100:101], v[72:73], s[16:17]
	v_mul_f64 v[114:115], v[70:71], s[16:17]
	;; [unrolled: 1-line block ×4, first 2 shown]
	v_fma_f64 v[108:109], v[56:57], s[6:7], v[116:117]
	v_fma_f64 v[110:111], v[58:59], s[6:7], -v[126:127]
	v_fma_f64 v[112:113], v[56:57], s[24:25], v[120:121]
	v_fma_f64 v[124:125], v[58:59], s[24:25], -v[146:147]
	v_mul_f64 v[154:155], v[72:73], s[28:29]
	v_fma_f64 v[132:133], v[56:57], s[26:27], v[150:151]
	v_mul_f64 v[175:176], v[70:71], s[28:29]
	v_fma_f64 v[136:137], v[58:59], s[26:27], -v[179:180]
	v_add_f64 v[0:1], v[8:9], v[0:1]
	v_add_f64 v[2:3], v[10:11], v[2:3]
	;; [unrolled: 1-line block ×6, first 2 shown]
	s_mov_b32 s36, 0x24c2f84
	s_mov_b32 s37, 0x3fe5384d
	;; [unrolled: 1-line block ×4, first 2 shown]
	v_add_f64 v[76:77], v[40:41], v[20:21]
	v_add_f64 v[118:119], v[42:43], v[22:23]
	v_add_f64 v[82:83], v[36:37], -v[24:25]
	v_add_f64 v[90:91], v[38:39], -v[26:27]
	v_mul_f64 v[102:103], v[84:85], s[20:21]
	v_mul_f64 v[134:135], v[92:93], s[20:21]
	v_fma_f64 v[138:139], v[62:63], s[18:19], v[100:101]
	v_fma_f64 v[140:141], v[68:69], s[18:19], -v[114:115]
	v_mul_f64 v[144:145], v[84:85], s[36:37]
	v_mul_f64 v[167:168], v[92:93], s[36:37]
	v_fma_f64 v[156:157], v[62:63], s[24:25], v[154:155]
	v_mul_f64 v[171:172], v[84:85], s[38:39]
	v_add_f64 v[0:1], v[108:109], v[0:1]
	v_add_f64 v[2:3], v[110:111], v[2:3]
	v_fma_f64 v[108:109], v[62:63], s[26:27], v[122:123]
	v_fma_f64 v[110:111], v[68:69], s[26:27], -v[142:143]
	v_add_f64 v[112:113], v[112:113], v[128:129]
	v_add_f64 v[148:149], v[124:125], v[130:131]
	;; [unrolled: 1-line block ×3, first 2 shown]
	v_mul_f64 v[177:178], v[92:93], s[38:39]
	v_fma_f64 v[132:133], v[68:69], s[24:25], -v[175:176]
	v_add_f64 v[106:107], v[136:137], v[106:107]
	s_mov_b32 s30, 0xd0032e0c
	s_mov_b32 s41, 0xbfe5384d
	;; [unrolled: 1-line block ×6, first 2 shown]
	v_add_f64 v[86:87], v[36:37], v[24:25]
	v_add_f64 v[94:95], v[38:39], v[26:27]
	v_add_f64 v[88:89], v[32:33], -v[28:29]
	v_add_f64 v[128:129], v[34:35], -v[30:31]
	v_mul_f64 v[124:125], v[90:91], s[40:41]
	v_mul_f64 v[130:131], v[82:83], s[40:41]
	v_fma_f64 v[160:161], v[76:77], s[24:25], v[102:103]
	v_fma_f64 v[185:186], v[118:119], s[24:25], -v[134:135]
	v_add_f64 v[0:1], v[138:139], v[0:1]
	v_add_f64 v[2:3], v[140:141], v[2:3]
	;; [unrolled: 1-line block ×4, first 2 shown]
	v_fma_f64 v[138:139], v[76:77], s[30:31], v[144:145]
	v_fma_f64 v[148:149], v[118:119], s[30:31], -v[167:168]
	v_mul_f64 v[140:141], v[90:91], s[34:35]
	v_mul_f64 v[152:153], v[82:83], s[34:35]
	v_add_f64 v[104:105], v[156:157], v[104:105]
	v_fma_f64 v[187:188], v[76:77], s[8:9], v[171:172]
	v_fma_f64 v[189:190], v[118:119], s[8:9], -v[177:178]
	v_mul_f64 v[158:159], v[90:91], s[4:5]
	v_mul_f64 v[163:164], v[82:83], s[4:5]
	v_add_f64 v[106:107], v[132:133], v[106:107]
	v_add_f64 v[112:113], v[32:33], v[28:29]
	;; [unrolled: 1-line block ×3, first 2 shown]
	v_mul_f64 v[136:137], v[88:89], s[22:23]
	v_mul_f64 v[132:133], v[128:129], s[22:23]
	v_fma_f64 v[191:192], v[86:87], s[30:31], v[124:125]
	v_fma_f64 v[193:194], v[94:95], s[30:31], -v[130:131]
	v_mul_f64 v[156:157], v[128:129], s[40:41]
	v_add_f64 v[0:1], v[160:161], v[0:1]
	v_add_f64 v[2:3], v[185:186], v[2:3]
	v_mul_f64 v[161:162], v[88:89], s[40:41]
	v_mul_lo_u16 v160, v220, 13
	v_add_f64 v[108:109], v[138:139], v[108:109]
	v_add_f64 v[110:111], v[148:149], v[110:111]
	v_mul_f64 v[138:139], v[128:129], s[38:39]
	v_mul_f64 v[148:149], v[88:89], s[38:39]
	v_fma_f64 v[185:186], v[86:87], s[18:19], v[140:141]
	v_fma_f64 v[195:196], v[94:95], s[18:19], -v[152:153]
	v_add_f64 v[104:105], v[187:188], v[104:105]
	v_fma_f64 v[187:188], v[86:87], s[6:7], v[158:159]
	v_fma_f64 v[197:198], v[94:95], s[6:7], -v[163:164]
	v_add_f64 v[106:107], v[189:190], v[106:107]
	buffer_store_dword v160, off, s[48:51], 0 offset:8 ; 4-byte Folded Spill
	s_waitcnt_vscnt null, 0x0
	v_fma_f64 v[199:200], v[169:170], s[26:27], -v[136:137]
	v_fma_f64 v[189:190], v[112:113], s[26:27], v[132:133]
	s_barrier
	buffer_gl0_inv
	v_fma_f64 v[205:206], v[112:113], s[30:31], v[156:157]
	v_add_f64 v[0:1], v[191:192], v[0:1]
	v_add_f64 v[2:3], v[193:194], v[2:3]
	v_fma_f64 v[207:208], v[169:170], s[30:31], -v[161:162]
	v_fma_f64 v[201:202], v[112:113], s[8:9], v[138:139]
	v_fma_f64 v[203:204], v[169:170], s[8:9], -v[148:149]
	v_add_f64 v[108:109], v[185:186], v[108:109]
	v_add_f64 v[110:111], v[195:196], v[110:111]
	;; [unrolled: 1-line block ×10, first 2 shown]
	s_and_saveexec_b32 s33, vcc_lo
	s_cbranch_execz .LBB0_7
; %bb.6:
	v_add_f64 v[54:55], v[10:11], v[54:55]
	v_add_f64 v[52:53], v[8:9], v[52:53]
	v_mul_f64 v[185:186], v[96:97], s[26:27]
	v_mul_f64 v[187:188], v[96:97], s[30:31]
	s_mov_b32 s43, 0x3fcea1e5
	s_mov_b32 s42, s22
	v_mul_f64 v[189:190], v[96:97], s[24:25]
	v_mul_f64 v[193:194], v[98:99], s[22:23]
	;; [unrolled: 1-line block ×9, first 2 shown]
	s_mov_b32 s45, 0x3fea55e2
	s_mov_b32 s44, s4
	v_mul_f64 v[199:200], v[96:97], s[6:7]
	v_mul_f64 v[98:99], v[98:99], s[20:21]
	;; [unrolled: 1-line block ×5, first 2 shown]
	v_add_f64 v[50:51], v[54:55], v[50:51]
	v_add_f64 v[48:49], v[52:53], v[48:49]
	v_fma_f64 v[225:226], v[64:65], s[42:43], v[185:186]
	v_fma_f64 v[231:232], v[64:65], s[36:37], v[187:188]
	v_fma_f64 v[187:188], v[64:65], s[40:41], v[187:188]
	v_fma_f64 v[185:186], v[64:65], s[22:23], v[185:186]
	v_fma_f64 v[245:246], v[64:65], s[28:29], v[189:190]
	v_fma_f64 v[64:65], v[64:65], s[20:21], v[189:190]
	v_fma_f64 v[247:248], v[66:67], s[10:11], v[203:204]
	v_fma_f64 v[189:190], v[66:67], s[34:35], v[207:208]
	v_mul_f64 v[52:53], v[96:97], s[8:9]
	v_mul_f64 v[54:55], v[60:61], s[6:7]
	;; [unrolled: 1-line block ×3, first 2 shown]
	v_fma_f64 v[233:234], v[60:61], s[30:31], v[197:198]
	v_add_f64 v[181:182], v[195:196], -v[181:182]
	v_fma_f64 v[195:196], v[60:61], s[30:31], -v[197:198]
	v_fma_f64 v[197:198], v[70:71], s[36:37], v[213:214]
	v_mul_f64 v[191:192], v[96:97], s[18:19]
	v_mul_f64 v[96:97], v[60:61], s[8:9]
	;; [unrolled: 1-line block ×3, first 2 shown]
	v_mov_b32_e32 v160, v220
	v_mul_f64 v[219:220], v[72:73], s[4:5]
	v_add_f64 v[46:47], v[50:51], v[46:47]
	v_add_f64 v[44:45], v[48:49], v[44:45]
	v_fma_f64 v[50:51], v[60:61], s[26:27], v[193:194]
	v_add_f64 v[225:226], v[10:11], v[225:226]
	v_add_f64 v[187:188], v[10:11], v[187:188]
	v_fma_f64 v[193:194], v[60:61], s[26:27], -v[193:194]
	v_mul_f64 v[48:49], v[94:95], s[24:25]
	v_mul_f64 v[229:230], v[94:95], s[8:9]
	v_fma_f64 v[203:204], v[66:67], s[38:39], v[203:204]
	v_fma_f64 v[249:250], v[66:67], s[16:17], v[207:208]
	v_add_f64 v[185:186], v[10:11], v[185:186]
	v_add_f64 v[231:232], v[10:11], v[231:232]
	v_mul_f64 v[207:208], v[84:85], s[44:45]
	v_add_f64 v[233:234], v[8:9], v[233:234]
	v_add_f64 v[173:174], v[173:174], v[199:200]
	v_fma_f64 v[199:200], v[62:63], s[30:31], v[215:216]
	v_add_f64 v[54:55], v[54:55], -v[165:166]
	v_add_f64 v[52:53], v[78:79], v[52:53]
	v_fma_f64 v[78:79], v[56:57], s[18:19], -v[211:212]
	v_fma_f64 v[165:166], v[92:93], s[4:5], v[221:222]
	v_mul_f64 v[201:202], v[58:59], s[26:27]
	v_mul_f64 v[227:228], v[90:91], s[20:21]
	v_add_f64 v[42:43], v[46:47], v[42:43]
	v_add_f64 v[40:41], v[44:45], v[40:41]
	v_fma_f64 v[44:45], v[56:57], s[8:9], v[205:206]
	v_add_f64 v[46:47], v[8:9], v[50:51]
	v_add_f64 v[225:226], v[247:248], v[225:226]
	v_fma_f64 v[247:248], v[70:71], s[44:45], v[217:218]
	v_fma_f64 v[217:218], v[70:71], s[4:5], v[217:218]
	v_fma_f64 v[50:51], v[56:57], s[8:9], -v[205:206]
	v_fma_f64 v[205:206], v[56:57], s[18:19], v[211:212]
	v_add_f64 v[193:194], v[8:9], v[193:194]
	v_mul_f64 v[237:238], v[68:69], s[8:9]
	v_mul_f64 v[243:244], v[56:57], s[6:7]
	v_add_f64 v[183:184], v[183:184], v[191:192]
	v_mul_f64 v[191:192], v[84:85], s[42:43]
	v_fma_f64 v[213:214], v[70:71], s[40:41], v[213:214]
	v_add_f64 v[185:186], v[203:204], v[185:186]
	v_mul_f64 v[80:81], v[80:81], s[36:37]
	v_mul_f64 v[239:240], v[68:69], s[24:25]
	v_add_f64 v[181:182], v[8:9], v[181:182]
	v_add_f64 v[54:55], v[8:9], v[54:55]
	v_mul_f64 v[241:242], v[118:119], s[18:19]
	v_fma_f64 v[215:216], v[62:63], s[30:31], -v[215:216]
	v_add_f64 v[38:39], v[42:43], v[38:39]
	v_add_f64 v[36:37], v[40:41], v[36:37]
	;; [unrolled: 1-line block ×4, first 2 shown]
	v_fma_f64 v[42:43], v[60:61], s[24:25], v[98:99]
	v_fma_f64 v[60:61], v[60:61], s[24:25], -v[98:99]
	v_add_f64 v[98:99], v[8:9], v[195:196]
	v_fma_f64 v[195:196], v[92:93], s[42:43], v[223:224]
	v_add_f64 v[197:198], v[197:198], v[225:226]
	v_add_f64 v[50:51], v[50:51], v[193:194]
	;; [unrolled: 1-line block ×4, first 2 shown]
	v_fma_f64 v[205:206], v[76:77], s[6:7], v[207:208]
	v_fma_f64 v[187:188], v[92:93], s[44:45], v[221:222]
	;; [unrolled: 1-line block ×3, first 2 shown]
	v_add_f64 v[185:186], v[213:214], v[185:186]
	v_add_f64 v[116:117], v[243:244], -v[116:117]
	v_fma_f64 v[46:47], v[62:63], s[6:7], v[219:220]
	v_add_f64 v[173:174], v[10:11], v[173:174]
	v_mul_f64 v[235:236], v[90:91], s[38:39]
	v_mul_f64 v[90:91], v[90:91], s[42:43]
	;; [unrolled: 1-line block ×3, first 2 shown]
	v_add_f64 v[34:35], v[38:39], v[34:35]
	v_add_f64 v[32:33], v[36:37], v[32:33]
	;; [unrolled: 1-line block ×4, first 2 shown]
	v_add_f64 v[38:39], v[96:97], -v[74:75]
	v_fma_f64 v[40:41], v[66:67], s[40:41], v[209:210]
	v_fma_f64 v[66:67], v[66:67], s[36:37], v[209:210]
	v_fma_f64 v[96:97], v[62:63], s[6:7], -v[219:220]
	v_add_f64 v[78:79], v[78:79], v[98:99]
	v_fma_f64 v[98:99], v[82:83], s[28:29], v[48:49]
	v_fma_f64 v[209:210], v[82:83], s[38:39], v[229:230]
	v_add_f64 v[165:166], v[165:166], v[197:198]
	v_add_f64 v[193:194], v[247:248], v[193:194]
	v_add_f64 v[74:75], v[179:180], v[201:202]
	v_fma_f64 v[179:180], v[86:87], s[24:25], v[227:228]
	v_add_f64 v[42:43], v[8:9], v[42:43]
	v_add_f64 v[60:61], v[8:9], v[60:61]
	v_add_f64 v[185:186], v[187:188], v[185:186]
	v_fma_f64 v[48:49], v[82:83], s[20:21], v[48:49]
	v_fma_f64 v[207:208], v[76:77], s[6:7], -v[207:208]
	v_add_f64 v[50:51], v[215:216], v[50:51]
	v_fma_f64 v[211:212], v[76:77], s[26:27], v[191:192]
	v_add_f64 v[30:31], v[34:35], v[30:31]
	v_add_f64 v[28:29], v[32:33], v[28:29]
	;; [unrolled: 1-line block ×5, first 2 shown]
	v_fma_f64 v[64:65], v[76:77], s[26:27], -v[191:192]
	v_add_f64 v[8:9], v[8:9], v[38:39]
	v_fma_f64 v[34:35], v[56:57], s[30:31], v[80:81]
	v_add_f64 v[78:79], v[96:97], v[78:79]
	v_add_f64 v[96:97], v[10:11], v[183:184]
	v_mul_f64 v[183:184], v[86:87], s[6:7]
	v_add_f64 v[38:39], v[98:99], v[165:166]
	v_mul_f64 v[165:166], v[62:63], s[18:19]
	v_add_f64 v[187:188], v[189:190], v[193:194]
	v_add_f64 v[189:190], v[10:11], v[245:246]
	;; [unrolled: 1-line block ×3, first 2 shown]
	v_mul_f64 v[175:176], v[62:63], s[26:27]
	v_add_f64 v[10:11], v[10:11], v[52:53]
	v_add_f64 v[46:47], v[46:47], v[203:204]
	;; [unrolled: 1-line block ×3, first 2 shown]
	v_fma_f64 v[185:186], v[86:87], s[8:9], -v[235:236]
	v_fma_f64 v[199:200], v[86:87], s[24:25], -v[227:228]
	v_add_f64 v[26:27], v[30:31], v[26:27]
	v_add_f64 v[24:25], v[28:29], v[24:25]
	;; [unrolled: 1-line block ×3, first 2 shown]
	v_mul_f64 v[30:31], v[58:59], s[24:25]
	v_add_f64 v[32:33], v[66:67], v[36:37]
	v_fma_f64 v[36:37], v[70:71], s[38:39], v[237:238]
	v_mul_f64 v[66:67], v[72:73], s[38:39]
	v_add_f64 v[44:45], v[179:180], v[44:45]
	v_add_f64 v[64:65], v[64:65], v[78:79]
	v_mul_f64 v[72:73], v[56:57], s[26:27]
	v_mul_f64 v[78:79], v[56:57], s[24:25]
	v_fma_f64 v[56:57], v[56:57], s[30:31], -v[80:81]
	v_mul_f64 v[80:81], v[118:119], s[8:9]
	v_add_f64 v[74:75], v[74:75], v[96:97]
	v_mul_f64 v[96:97], v[68:69], s[18:19]
	v_mul_f64 v[68:69], v[68:69], s[26:27]
	;; [unrolled: 1-line block ×3, first 2 shown]
	v_add_f64 v[100:101], v[165:166], -v[100:101]
	v_add_f64 v[8:9], v[116:117], v[8:9]
	v_fma_f64 v[70:71], v[70:71], s[10:11], v[237:238]
	v_add_f64 v[40:41], v[40:41], v[189:190]
	v_add_f64 v[34:35], v[34:35], v[42:43]
	v_fma_f64 v[42:43], v[92:93], s[34:35], v[241:242]
	v_fma_f64 v[92:93], v[92:93], s[16:17], v[241:242]
	v_mul_f64 v[58:59], v[58:59], s[6:7]
	v_add_f64 v[30:31], v[146:147], v[30:31]
	v_mul_f64 v[146:147], v[76:77], s[8:9]
	v_add_f64 v[32:33], v[36:37], v[32:33]
	v_fma_f64 v[36:37], v[62:63], s[8:9], v[66:67]
	v_fma_f64 v[62:63], v[62:63], s[8:9], -v[66:67]
	v_mul_f64 v[66:67], v[76:77], s[24:25]
	v_add_f64 v[72:73], v[72:73], -v[150:151]
	v_add_f64 v[78:79], v[78:79], -v[120:121]
	v_mul_f64 v[150:151], v[118:119], s[24:25]
	v_add_f64 v[80:81], v[177:178], v[80:81]
	v_mul_f64 v[177:178], v[86:87], s[30:31]
	v_add_f64 v[74:75], v[98:99], v[74:75]
	;; [unrolled: 2-line block ×4, first 2 shown]
	v_add_f64 v[96:97], v[114:115], v[96:97]
	v_add_f64 v[40:41], v[70:71], v[40:41]
	v_fma_f64 v[70:71], v[86:87], s[26:27], -v[90:91]
	v_add_f64 v[56:57], v[56:57], v[60:61]
	v_mul_f64 v[60:61], v[76:77], s[30:31]
	v_add_f64 v[58:59], v[126:127], v[58:59]
	v_add_f64 v[30:31], v[30:31], v[173:174]
	v_mul_f64 v[173:174], v[128:129], s[34:35]
	v_add_f64 v[32:33], v[92:93], v[32:33]
	v_add_f64 v[122:123], v[175:176], -v[122:123]
	v_add_f64 v[154:155], v[179:180], -v[154:155]
	;; [unrolled: 1-line block ×3, first 2 shown]
	v_add_f64 v[72:73], v[72:73], v[181:182]
	v_add_f64 v[54:55], v[78:79], v[54:55]
	;; [unrolled: 1-line block ×4, first 2 shown]
	v_mul_f64 v[142:143], v[94:95], s[18:19]
	v_add_f64 v[146:147], v[146:147], -v[171:172]
	v_add_f64 v[92:93], v[130:131], v[98:99]
	v_add_f64 v[98:99], v[177:178], -v[124:125]
	v_mul_f64 v[171:172], v[94:95], s[6:7]
	v_add_f64 v[118:119], v[167:168], v[118:119]
	v_mul_f64 v[94:95], v[94:95], s[26:27]
	v_add_f64 v[40:41], v[42:43], v[40:41]
	v_fma_f64 v[42:43], v[86:87], s[26:27], v[90:91]
	v_add_f64 v[134:135], v[134:135], v[150:151]
	v_mul_f64 v[126:127], v[86:87], s[18:19]
	v_add_f64 v[10:11], v[58:59], v[10:11]
	v_add_f64 v[30:31], v[68:69], v[30:31]
	v_fma_f64 v[68:69], v[112:113], s[18:19], v[173:174]
	v_add_f64 v[60:61], v[60:61], -v[144:145]
	v_add_f64 v[34:35], v[36:37], v[34:35]
	v_mul_f64 v[120:121], v[169:170], s[18:19]
	v_add_f64 v[8:9], v[66:67], v[8:9]
	v_add_f64 v[26:27], v[154:155], v[72:73]
	;; [unrolled: 1-line block ×4, first 2 shown]
	v_fma_f64 v[62:63], v[76:77], s[18:19], v[84:85]
	v_add_f64 v[18:19], v[22:23], v[18:19]
	v_add_f64 v[16:17], v[20:21], v[16:17]
	v_mul_f64 v[179:180], v[112:113], s[26:27]
	v_mul_f64 v[181:182], v[169:170], s[24:25]
	;; [unrolled: 1-line block ×6, first 2 shown]
	v_fma_f64 v[36:37], v[82:83], s[42:43], v[94:95]
	v_add_f64 v[72:73], v[163:164], v[171:172]
	v_add_f64 v[74:75], v[80:81], v[74:75]
	;; [unrolled: 1-line block ×3, first 2 shown]
	v_fma_f64 v[96:97], v[76:77], s[18:19], -v[84:85]
	v_add_f64 v[80:81], v[152:153], v[142:143]
	v_add_f64 v[30:31], v[118:119], v[30:31]
	v_mul_f64 v[114:115], v[112:113], s[8:9]
	v_add_f64 v[84:85], v[126:127], -v[140:141]
	v_add_f64 v[90:91], v[98:99], v[8:9]
	v_add_f64 v[8:9], v[68:69], v[44:45]
	buffer_load_dword v45, off, s[48:51], 0 offset:8 ; 4-byte Folded Reload
	v_add_f64 v[20:21], v[60:61], v[24:25]
	v_mul_f64 v[165:166], v[112:113], s[30:31]
	v_add_f64 v[76:77], v[183:184], -v[158:159]
	v_add_f64 v[22:23], v[146:147], v[26:27]
	v_mul_f64 v[56:57], v[128:129], s[44:45]
	v_mul_f64 v[167:168], v[128:129], s[20:21]
	v_add_f64 v[50:51], v[207:208], v[50:51]
	v_fma_f64 v[201:202], v[82:83], s[10:11], v[229:230]
	v_fma_f64 v[203:204], v[86:87], s[8:9], v[235:236]
	v_add_f64 v[46:47], v[211:212], v[46:47]
	v_fma_f64 v[26:27], v[82:83], s[22:23], v[94:95]
	v_add_f64 v[34:35], v[62:63], v[34:35]
	v_add_f64 v[86:87], v[18:19], v[14:15]
	v_add_f64 v[10:11], v[134:135], v[10:11]
	v_add_f64 v[24:25], v[96:97], v[54:55]
	v_add_f64 v[16:17], v[16:17], v[12:13]
	v_fma_f64 v[54:55], v[88:89], s[44:45], v[169:170]
	v_add_f64 v[32:33], v[36:37], v[32:33]
	v_add_f64 v[62:63], v[72:73], v[74:75]
	;; [unrolled: 1-line block ×4, first 2 shown]
	v_add_f64 v[82:83], v[179:180], -v[132:133]
	v_fma_f64 v[144:145], v[88:89], s[28:29], v[181:182]
	v_fma_f64 v[181:182], v[88:89], s[20:21], v[181:182]
	v_add_f64 v[58:59], v[148:149], v[58:59]
	v_add_f64 v[72:73], v[114:115], -v[138:139]
	v_add_f64 v[20:21], v[84:85], v[20:21]
	v_add_f64 v[60:61], v[161:162], v[116:117]
	v_add_f64 v[66:67], v[165:166], -v[156:157]
	v_add_f64 v[76:77], v[76:77], v[22:23]
	v_fma_f64 v[36:37], v[112:113], s[6:7], -v[56:57]
	v_fma_f64 v[150:151], v[112:113], s[24:25], v[167:168]
	v_fma_f64 v[167:168], v[112:113], s[24:25], -v[167:168]
	v_add_f64 v[64:65], v[185:186], v[64:65]
	v_add_f64 v[50:51], v[199:200], v[50:51]
	;; [unrolled: 1-line block ×4, first 2 shown]
	v_fma_f64 v[78:79], v[88:89], s[16:17], v[120:121]
	v_fma_f64 v[120:121], v[88:89], s[34:35], v[120:121]
	v_fma_f64 v[173:174], v[112:113], s[18:19], -v[173:174]
	v_add_f64 v[52:53], v[201:202], v[187:188]
	v_add_f64 v[46:47], v[203:204], v[46:47]
	v_fma_f64 v[84:85], v[88:89], s[4:5], v[169:170]
	v_add_f64 v[40:41], v[26:27], v[40:41]
	v_fma_f64 v[56:57], v[112:113], s[6:7], v[56:57]
	v_add_f64 v[88:89], v[42:43], v[34:35]
	v_add_f64 v[6:7], v[86:87], v[6:7]
	;; [unrolled: 1-line block ×11, first 2 shown]
	v_mov_b32_e32 v44, 4
	v_add_f64 v[34:35], v[74:75], v[80:81]
	v_add_f64 v[20:21], v[36:37], v[70:71]
	;; [unrolled: 1-line block ×7, first 2 shown]
	v_mov_b32_e32 v220, v160
	v_add_f64 v[42:43], v[84:85], v[40:41]
	v_add_f64 v[40:41], v[56:57], v[88:89]
	s_waitcnt vmcnt(0)
	v_lshlrev_b32_sdwa v44, v44, v45 dst_sel:DWORD dst_unused:UNUSED_PAD src0_sel:DWORD src1_sel:WORD_0
	ds_write_b128 v44, v[4:7]
	ds_write_b128 v44, v[32:35] offset:16
	ds_write_b128 v44, v[28:31] offset:32
	;; [unrolled: 1-line block ×12, first 2 shown]
.LBB0_7:
	s_or_b32 exec_lo, exec_lo, s33
	v_and_b32_e32 v51, 0xff, v220
	v_add_co_u32 v52, s4, 0xc3, v220
	v_mov_b32_e32 v40, 4
	v_add_co_ci_u32_e64 v53, null, 0, 0, s4
	v_mul_lo_u16 v4, 0x4f, v51
	s_load_dwordx4 s[4:7], s[0:1], 0x0
	s_waitcnt lgkmcnt(0)
	s_barrier
	buffer_gl0_inv
	v_lshrrev_b16 v36, 10, v4
	v_mov_b32_e32 v4, 0x4ec5
	v_lshlrev_b32_sdwa v160, v40, v220 dst_sel:DWORD dst_unused:UNUSED_PAD src0_sel:DWORD src1_sel:WORD_0
	s_mov_b32 s0, 0x134454ff
	s_mov_b32 s1, 0x3fee6f0e
	v_mul_lo_u16 v5, v36, 13
	v_mul_u32_u24_sdwa v4, v52, v4 dst_sel:DWORD dst_unused:UNUSED_PAD src0_sel:WORD_0 src1_sel:DWORD
	s_mov_b32 s17, 0xbfee6f0e
	s_mov_b32 s16, s0
	;; [unrolled: 1-line block ×3, first 2 shown]
	v_sub_nc_u16 v5, v220, v5
	v_lshrrev_b32_e32 v38, 18, v4
	s_mov_b32 s9, 0x3fe2cf23
	s_mov_b32 s19, 0xbfe2cf23
	s_mov_b32 s18, s8
	v_and_b32_e32 v37, 0xff, v5
	v_mul_lo_u16 v4, v38, 13
	v_mul_lo_u16 v51, 0xfd, v51
	s_mov_b32 s10, 0x372fe950
	s_mov_b32 s11, 0x3fd3c6ef
	v_lshlrev_b32_e32 v5, 6, v37
	v_sub_nc_u16 v39, v52, v4
	s_mov_b32 s20, 0x9b97f4a8
	s_mov_b32 s21, 0x3fe9e377
	s_clause 0x1
	global_load_dwordx4 v[32:35], v5, s[2:3]
	global_load_dwordx4 v[28:31], v5, s[2:3] offset:16
	v_lshlrev_b16 v4, 2, v39
	s_clause 0x1
	global_load_dwordx4 v[24:27], v5, s[2:3] offset:32
	global_load_dwordx4 v[20:23], v5, s[2:3] offset:48
	v_mad_u16 v38, 0x41, v38, v39
	v_lshlrev_b32_sdwa v4, v40, v4 dst_sel:DWORD dst_unused:UNUSED_PAD src0_sel:DWORD src1_sel:WORD_0
	s_clause 0x3
	global_load_dwordx4 v[16:19], v4, s[2:3]
	global_load_dwordx4 v[12:15], v4, s[2:3] offset:16
	global_load_dwordx4 v[8:11], v4, s[2:3] offset:32
	;; [unrolled: 1-line block ×3, first 2 shown]
	ds_read_b128 v[41:44], v160 offset:6240
	ds_read_b128 v[45:48], v160 offset:12480
	;; [unrolled: 1-line block ×8, first 2 shown]
	v_lshlrev_b32_sdwa v206, v40, v38 dst_sel:DWORD dst_unused:UNUSED_PAD src0_sel:DWORD src1_sel:WORD_0
	s_waitcnt vmcnt(7) lgkmcnt(7)
	v_mul_f64 v[49:50], v[43:44], v[34:35]
	v_mul_f64 v[78:79], v[41:42], v[34:35]
	s_waitcnt vmcnt(6) lgkmcnt(6)
	v_mul_f64 v[80:81], v[47:48], v[30:31]
	v_mul_f64 v[82:83], v[45:46], v[30:31]
	;; [unrolled: 3-line block ×4, first 2 shown]
	s_waitcnt vmcnt(3) lgkmcnt(3)
	v_mul_f64 v[92:93], v[64:65], v[18:19]
	s_waitcnt vmcnt(2) lgkmcnt(2)
	v_mul_f64 v[96:97], v[68:69], v[14:15]
	;; [unrolled: 2-line block ×4, first 2 shown]
	v_mul_f64 v[98:99], v[66:67], v[14:15]
	v_mul_f64 v[102:103], v[70:71], v[10:11]
	;; [unrolled: 1-line block ×4, first 2 shown]
	v_fma_f64 v[49:50], v[41:42], v[32:33], -v[49:50]
	v_fma_f64 v[78:79], v[43:44], v[32:33], v[78:79]
	v_fma_f64 v[80:81], v[45:46], v[28:29], -v[80:81]
	v_fma_f64 v[82:83], v[47:48], v[28:29], v[82:83]
	ds_read_b128 v[41:44], v160
	ds_read_b128 v[45:48], v160 offset:3120
	v_fma_f64 v[84:85], v[54:55], v[24:25], -v[84:85]
	v_fma_f64 v[55:56], v[56:57], v[24:25], v[88:89]
	v_fma_f64 v[60:61], v[60:61], v[20:21], v[86:87]
	v_fma_f64 v[57:58], v[58:59], v[20:21], -v[90:91]
	v_fma_f64 v[66:67], v[66:67], v[12:13], -v[96:97]
	buffer_store_dword v12, off, s[48:51], 0 offset:44 ; 4-byte Folded Spill
	buffer_store_dword v13, off, s[48:51], 0 offset:48 ; 4-byte Folded Spill
	buffer_store_dword v14, off, s[48:51], 0 offset:52 ; 4-byte Folded Spill
	buffer_store_dword v15, off, s[48:51], 0 offset:56 ; 4-byte Folded Spill
	v_fma_f64 v[70:71], v[70:71], v[8:9], -v[100:101]
	buffer_store_dword v8, off, s[48:51], 0 offset:28 ; 4-byte Folded Spill
	buffer_store_dword v9, off, s[48:51], 0 offset:32 ; 4-byte Folded Spill
	buffer_store_dword v10, off, s[48:51], 0 offset:36 ; 4-byte Folded Spill
	buffer_store_dword v11, off, s[48:51], 0 offset:40 ; 4-byte Folded Spill
	v_fma_f64 v[74:75], v[74:75], v[4:5], -v[112:113]
	buffer_store_dword v4, off, s[48:51], 0 offset:12 ; 4-byte Folded Spill
	buffer_store_dword v5, off, s[48:51], 0 offset:16 ; 4-byte Folded Spill
	buffer_store_dword v6, off, s[48:51], 0 offset:20 ; 4-byte Folded Spill
	buffer_store_dword v7, off, s[48:51], 0 offset:24 ; 4-byte Folded Spill
	v_fma_f64 v[62:63], v[62:63], v[16:17], -v[92:93]
	v_fma_f64 v[64:65], v[64:65], v[16:17], v[94:95]
	v_lshrrev_b16 v54, 14, v51
	s_waitcnt lgkmcnt(0)
	s_waitcnt_vscnt null, 0x0
	s_barrier
	buffer_gl0_inv
	v_mul_lo_u16 v51, 0x41, v54
	v_add_f64 v[86:87], v[41:42], v[49:50]
	v_add_f64 v[94:95], v[49:50], -v[80:81]
	v_add_f64 v[112:113], v[43:44], v[78:79]
	v_add_f64 v[100:101], v[80:81], -v[49:50]
	;; [unrolled: 2-line block ×4, first 2 shown]
	v_add_f64 v[90:91], v[78:79], -v[60:61]
	v_add_f64 v[120:121], v[60:61], -v[55:56]
	v_add_f64 v[126:127], v[66:67], v[70:71]
	v_add_f64 v[78:79], v[82:83], -v[78:79]
	v_add_f64 v[124:125], v[55:56], -v[60:61]
	;; [unrolled: 1-line block ×3, first 2 shown]
	v_add_f64 v[130:131], v[62:63], v[74:75]
	v_add_f64 v[128:129], v[45:46], v[62:63]
	v_add_f64 v[116:117], v[80:81], -v[84:85]
	v_add_f64 v[148:149], v[47:48], v[64:65]
	v_add_f64 v[140:141], v[62:63], -v[66:67]
	v_add_f64 v[144:145], v[66:67], -v[62:63]
	v_add_f64 v[62:63], v[62:63], -v[74:75]
	v_add_f64 v[142:143], v[74:75], -v[70:71]
	v_add_f64 v[80:81], v[86:87], v[80:81]
	v_add_f64 v[150:151], v[66:67], -v[70:71]
	v_add_f64 v[146:147], v[70:71], -v[74:75]
	v_sub_nc_u16 v51, v220, v51
	v_fma_f64 v[88:89], v[88:89], -0.5, v[41:42]
	v_add_f64 v[86:87], v[94:95], v[96:97]
	v_fma_f64 v[126:127], v[126:127], -0.5, v[45:46]
	v_add_f64 v[78:79], v[78:79], v[124:125]
	;; [unrolled: 2-line block ×3, first 2 shown]
	v_add_f64 v[66:67], v[66:67], v[70:71]
	v_fma_f64 v[68:69], v[68:69], v[12:13], v[98:99]
	v_add_f64 v[98:99], v[49:50], v[57:58]
	v_fma_f64 v[72:73], v[72:73], v[8:9], v[102:103]
	v_add_f64 v[102:103], v[84:85], -v[57:58]
	v_fma_f64 v[76:77], v[76:77], v[4:5], v[114:115]
	v_add_f64 v[114:115], v[82:83], v[55:56]
	v_add_f64 v[49:50], v[49:50], -v[57:58]
	v_add_f64 v[82:83], v[112:113], v[82:83]
	v_add_f64 v[112:113], v[144:145], v[146:147]
	v_add_f64 v[152:153], v[64:65], -v[68:69]
	v_fma_f64 v[41:42], v[98:99], -0.5, v[41:42]
	v_add_f64 v[134:135], v[68:69], v[72:73]
	v_add_f64 v[138:139], v[68:69], -v[72:73]
	v_add_f64 v[136:137], v[64:65], v[76:77]
	v_fma_f64 v[114:115], v[114:115], -0.5, v[43:44]
	v_fma_f64 v[43:44], v[122:123], -0.5, v[43:44]
	v_add_f64 v[132:133], v[64:65], -v[76:77]
	v_add_f64 v[64:65], v[68:69], -v[64:65]
	;; [unrolled: 1-line block ×3, first 2 shown]
	v_add_f64 v[96:97], v[100:101], v[102:103]
	v_add_f64 v[100:101], v[118:119], v[120:121]
	v_fma_f64 v[118:119], v[90:91], s[0:1], v[88:89]
	v_add_f64 v[68:69], v[148:149], v[68:69]
	v_fma_f64 v[88:89], v[90:91], s[16:17], v[88:89]
	v_add_f64 v[98:99], v[76:77], -v[72:73]
	v_add_f64 v[102:103], v[140:141], v[142:143]
	v_add_f64 v[55:56], v[82:83], v[55:56]
	v_fma_f64 v[120:121], v[92:93], s[16:17], v[41:42]
	v_fma_f64 v[94:95], v[134:135], -0.5, v[47:48]
	v_fma_f64 v[41:42], v[92:93], s[0:1], v[41:42]
	v_fma_f64 v[47:48], v[136:137], -0.5, v[47:48]
	v_fma_f64 v[124:125], v[49:50], s[16:17], v[114:115]
	v_fma_f64 v[128:129], v[116:117], s[0:1], v[43:44]
	;; [unrolled: 1-line block ×8, first 2 shown]
	v_add_f64 v[122:123], v[64:65], v[122:123]
	v_add_f64 v[64:65], v[80:81], v[84:85]
	v_fma_f64 v[70:71], v[92:93], s[8:9], v[118:119]
	v_add_f64 v[68:69], v[68:69], v[72:73]
	v_fma_f64 v[72:73], v[92:93], s[18:19], v[88:89]
	;; [unrolled: 2-line block ×3, first 2 shown]
	v_fma_f64 v[136:137], v[62:63], s[16:17], v[94:95]
	v_fma_f64 v[94:95], v[62:63], s[0:1], v[94:95]
	;; [unrolled: 1-line block ×13, first 2 shown]
	v_add_f64 v[41:42], v[64:65], v[57:58]
	v_add_f64 v[43:44], v[55:56], v[60:61]
	v_fma_f64 v[56:57], v[86:87], s[10:11], v[70:71]
	v_add_f64 v[45:46], v[66:67], v[74:75]
	v_fma_f64 v[60:61], v[86:87], s[10:11], v[72:73]
	v_mov_b32_e32 v128, 0x41
	v_and_b32_e32 v55, 0xff, v51
	v_fma_f64 v[64:65], v[96:97], s[10:11], v[80:81]
	v_fma_f64 v[120:121], v[150:151], s[18:19], v[136:137]
	;; [unrolled: 1-line block ×6, first 2 shown]
	v_add_f64 v[47:48], v[68:69], v[76:77]
	v_fma_f64 v[66:67], v[78:79], s[10:11], v[90:91]
	v_fma_f64 v[68:69], v[96:97], s[10:11], v[82:83]
	;; [unrolled: 1-line block ×8, first 2 shown]
	v_mul_u32_u24_sdwa v36, v36, v128 dst_sel:DWORD dst_unused:UNUSED_PAD src0_sel:WORD_0 src1_sel:DWORD
	v_mad_u64_u32 v[88:89], null, 0x90, v55, s[2:3]
	v_add_lshl_u32 v209, v36, v37, 4
	v_fma_f64 v[74:75], v[98:99], s[10:11], v[120:121]
	v_fma_f64 v[78:79], v[98:99], s[10:11], v[94:95]
	;; [unrolled: 1-line block ×4, first 2 shown]
	ds_write_b128 v209, v[41:44]
	ds_write_b128 v209, v[56:59] offset:208
	ds_write_b128 v209, v[64:67] offset:416
	;; [unrolled: 1-line block ×4, first 2 shown]
	ds_write_b128 v206, v[45:48]
	ds_write_b128 v206, v[72:75] offset:208
	ds_write_b128 v206, v[80:83] offset:416
	;; [unrolled: 1-line block ×4, first 2 shown]
	s_waitcnt lgkmcnt(0)
	s_barrier
	buffer_gl0_inv
	s_clause 0x8
	global_load_dwordx4 v[40:43], v[88:89], off offset:864
	global_load_dwordx4 v[48:51], v[88:89], off offset:896
	;; [unrolled: 1-line block ×9, first 2 shown]
	ds_read_b128 v[56:59], v160 offset:9360
	ds_read_b128 v[80:83], v160 offset:15600
	;; [unrolled: 1-line block ×9, first 2 shown]
	s_waitcnt vmcnt(8) lgkmcnt(8)
	v_mul_f64 v[120:121], v[58:59], v[42:43]
	s_waitcnt vmcnt(7) lgkmcnt(7)
	v_mul_f64 v[124:125], v[82:83], v[50:51]
	v_mul_f64 v[126:127], v[80:81], v[50:51]
	s_waitcnt vmcnt(6) lgkmcnt(6)
	v_mul_f64 v[128:129], v[84:85], v[46:47]
	s_waitcnt vmcnt(5) lgkmcnt(5)
	v_mul_f64 v[132:133], v[90:91], v[62:63]
	v_mul_f64 v[134:135], v[86:87], v[46:47]
	;; [unrolled: 1-line block ×4, first 2 shown]
	s_waitcnt vmcnt(4) lgkmcnt(4)
	v_mul_f64 v[136:137], v[94:95], v[38:39]
	v_mul_f64 v[138:139], v[92:93], v[38:39]
	s_waitcnt vmcnt(3) lgkmcnt(3)
	v_mul_f64 v[140:141], v[98:99], v[78:79]
	v_mul_f64 v[142:143], v[96:97], v[78:79]
	;; [unrolled: 3-line block ×3, first 2 shown]
	s_waitcnt vmcnt(1) lgkmcnt(1)
	v_mul_f64 v[148:149], v[114:115], v[70:71]
	s_waitcnt vmcnt(0) lgkmcnt(0)
	v_mul_f64 v[150:151], v[116:117], v[66:67]
	v_mul_f64 v[152:153], v[112:113], v[70:71]
	v_fma_f64 v[120:121], v[56:57], v[40:41], -v[120:121]
	v_fma_f64 v[80:81], v[80:81], v[48:49], -v[124:125]
	v_fma_f64 v[82:83], v[82:83], v[48:49], v[126:127]
	v_fma_f64 v[86:87], v[86:87], v[44:45], v[128:129]
	v_fma_f64 v[88:89], v[88:89], v[60:61], -v[132:133]
	v_fma_f64 v[84:85], v[84:85], v[44:45], -v[134:135]
	v_fma_f64 v[122:123], v[58:59], v[40:41], v[122:123]
	v_fma_f64 v[90:91], v[90:91], v[60:61], v[130:131]
	v_mul_f64 v[124:125], v[118:119], v[66:67]
	v_fma_f64 v[92:93], v[92:93], v[36:37], -v[136:137]
	v_fma_f64 v[94:95], v[94:95], v[36:37], v[138:139]
	v_fma_f64 v[96:97], v[96:97], v[76:77], -v[140:141]
	v_fma_f64 v[98:99], v[98:99], v[76:77], v[142:143]
	;; [unrolled: 2-line block ×4, first 2 shown]
	v_fma_f64 v[114:115], v[114:115], v[68:69], v[152:153]
	ds_read_b128 v[56:59], v160
	s_waitcnt lgkmcnt(0)
	s_barrier
	buffer_gl0_inv
	v_add_f64 v[167:168], v[120:121], -v[80:81]
	v_add_f64 v[171:172], v[80:81], -v[120:121]
	v_add_f64 v[126:127], v[82:83], v[86:87]
	v_add_f64 v[130:131], v[120:121], v[88:89]
	;; [unrolled: 1-line block ×3, first 2 shown]
	v_add_f64 v[142:143], v[82:83], -v[86:87]
	v_add_f64 v[128:129], v[122:123], v[90:91]
	v_fma_f64 v[116:117], v[116:117], v[64:65], -v[124:125]
	v_add_f64 v[140:141], v[122:123], -v[90:91]
	v_add_f64 v[144:145], v[120:121], -v[88:89]
	;; [unrolled: 1-line block ×6, first 2 shown]
	v_add_f64 v[134:135], v[100:101], v[112:113]
	v_add_f64 v[165:166], v[98:99], v[118:119]
	;; [unrolled: 1-line block ×3, first 2 shown]
	v_add_f64 v[177:178], v[90:91], -v[86:87]
	v_add_f64 v[179:180], v[82:83], -v[122:123]
	;; [unrolled: 1-line block ×3, first 2 shown]
	v_add_f64 v[124:125], v[56:57], v[96:97]
	v_add_f64 v[158:159], v[58:59], v[98:99]
	v_add_f64 v[136:137], v[98:99], -v[118:119]
	v_add_f64 v[148:149], v[96:97], -v[100:101]
	v_fma_f64 v[126:127], v[126:127], -0.5, v[94:95]
	v_fma_f64 v[130:131], v[130:131], -0.5, v[92:93]
	;; [unrolled: 1-line block ×3, first 2 shown]
	v_add_f64 v[92:93], v[92:93], v[120:121]
	v_fma_f64 v[128:129], v[128:129], -0.5, v[94:95]
	v_add_f64 v[152:153], v[96:97], v[116:117]
	v_add_f64 v[94:95], v[94:95], v[122:123]
	v_add_f64 v[150:151], v[116:117], -v[112:113]
	v_add_f64 v[154:155], v[100:101], -v[96:97]
	;; [unrolled: 1-line block ×5, first 2 shown]
	v_fma_f64 v[120:121], v[134:135], -0.5, v[56:57]
	v_add_f64 v[134:135], v[167:168], v[169:170]
	v_fma_f64 v[122:123], v[161:162], -0.5, v[58:59]
	v_fma_f64 v[58:59], v[165:166], -0.5, v[58:59]
	v_add_f64 v[161:162], v[175:176], v[177:178]
	v_add_f64 v[165:166], v[179:180], v[181:182]
	v_add_f64 v[156:157], v[112:113], -v[116:117]
	v_add_f64 v[191:192], v[98:99], -v[102:103]
	;; [unrolled: 1-line block ×3, first 2 shown]
	v_add_f64 v[100:101], v[124:125], v[100:101]
	v_fma_f64 v[183:184], v[144:145], s[16:17], v[126:127]
	v_fma_f64 v[187:188], v[142:143], s[0:1], v[130:131]
	;; [unrolled: 1-line block ×8, first 2 shown]
	v_fma_f64 v[56:57], v[152:153], -0.5, v[56:57]
	v_add_f64 v[152:153], v[171:172], v[173:174]
	v_add_f64 v[102:103], v[158:159], v[102:103]
	;; [unrolled: 1-line block ×4, first 2 shown]
	v_add_f64 v[193:194], v[118:119], -v[114:115]
	v_add_f64 v[124:125], v[148:149], v[150:151]
	v_fma_f64 v[92:93], v[136:137], s[0:1], v[120:121]
	v_fma_f64 v[94:95], v[136:137], s[16:17], v[120:121]
	v_add_f64 v[195:196], v[114:115], -v[118:119]
	v_add_f64 v[100:101], v[100:101], v[112:113]
	v_fma_f64 v[167:168], v[146:147], s[18:19], v[183:184]
	v_fma_f64 v[171:172], v[140:141], s[18:19], v[187:188]
	;; [unrolled: 1-line block ×14, first 2 shown]
	v_add_f64 v[140:141], v[154:155], v[156:157]
	v_add_f64 v[102:103], v[102:103], v[114:115]
	;; [unrolled: 1-line block ×4, first 2 shown]
	v_fma_f64 v[84:85], v[138:139], s[8:9], v[92:93]
	v_fma_f64 v[86:87], v[138:139], s[18:19], v[94:95]
	v_add_f64 v[98:99], v[98:99], v[195:196]
	v_add_f64 v[100:101], v[100:101], v[116:117]
	v_fma_f64 v[146:147], v[161:162], s[10:11], v[167:168]
	v_fma_f64 v[150:151], v[152:153], s[10:11], v[171:172]
	;; [unrolled: 1-line block ×8, first 2 shown]
	v_add_f64 v[134:135], v[191:192], v[193:194]
	v_fma_f64 v[94:95], v[163:164], s[18:19], v[142:143]
	v_fma_f64 v[112:113], v[163:164], s[8:9], v[122:123]
	;; [unrolled: 1-line block ×6, first 2 shown]
	v_add_f64 v[102:103], v[102:103], v[118:119]
	v_add_f64 v[80:81], v[80:81], v[88:89]
	;; [unrolled: 1-line block ×3, first 2 shown]
	v_fma_f64 v[116:117], v[124:125], s[10:11], v[84:85]
	v_fma_f64 v[118:119], v[124:125], s[10:11], v[86:87]
	v_mul_f64 v[96:97], v[146:147], s[8:9]
	v_mul_f64 v[122:123], v[150:151], s[10:11]
	;; [unrolled: 1-line block ×8, first 2 shown]
	v_fma_f64 v[156:157], v[134:135], s[10:11], v[94:95]
	v_fma_f64 v[134:135], v[134:135], s[10:11], v[112:113]
	;; [unrolled: 1-line block ×6, first 2 shown]
	v_add_f64 v[56:57], v[100:101], v[80:81]
	v_add_f64 v[58:59], v[102:103], v[82:83]
	v_add_f64 v[80:81], v[100:101], -v[80:81]
	v_add_f64 v[82:83], v[102:103], -v[82:83]
	v_fma_f64 v[112:113], v[132:133], s[20:21], v[96:97]
	v_fma_f64 v[122:123], v[128:129], s[0:1], -v[122:123]
	v_fma_f64 v[126:127], v[126:127], s[8:9], -v[136:137]
	v_fma_f64 v[128:129], v[146:147], s[20:21], v[138:139]
	v_fma_f64 v[120:121], v[130:131], s[10:11], v[120:121]
	v_fma_f64 v[130:131], v[148:149], s[10:11], v[142:143]
	v_fma_f64 v[132:133], v[150:151], s[16:17], -v[144:145]
	v_fma_f64 v[136:137], v[154:155], s[18:19], -v[152:153]
	v_mov_b32_e32 v138, 0x28a
	v_cmp_gt_u16_e64 s0, 0x41, v220
	v_mul_u32_u24_sdwa v54, v54, v138 dst_sel:DWORD dst_unused:UNUSED_PAD src0_sel:WORD_0 src1_sel:DWORD
	v_add_lshl_u32 v205, v54, v55, 4
	v_add_f64 v[84:85], v[116:117], v[112:113]
	v_add_f64 v[92:93], v[140:141], v[122:123]
	;; [unrolled: 1-line block ×8, first 2 shown]
	v_add_f64 v[100:101], v[116:117], -v[112:113]
	v_add_f64 v[102:103], v[156:157], -v[128:129]
	;; [unrolled: 1-line block ×8, first 2 shown]
	ds_write_b128 v205, v[56:59]
	ds_write_b128 v205, v[80:83] offset:5200
	ds_write_b128 v205, v[84:87] offset:1040
	;; [unrolled: 1-line block ×9, first 2 shown]
	s_waitcnt lgkmcnt(0)
	s_barrier
	buffer_gl0_inv
	ds_read_b128 v[120:123], v160
	ds_read_b128 v[116:119], v160 offset:3120
	ds_read_b128 v[140:143], v160 offset:20800
	;; [unrolled: 1-line block ×8, first 2 shown]
	s_and_saveexec_b32 s1, s0
	s_cbranch_execz .LBB0_9
; %bb.8:
	ds_read_b128 v[112:115], v160 offset:9360
	ds_read_b128 v[104:107], v160 offset:19760
	;; [unrolled: 1-line block ×3, first 2 shown]
.LBB0_9:
	s_or_b32 exec_lo, exec_lo, s1
	v_lshlrev_b32_e32 v80, 5, v220
	v_add_co_u32 v96, s1, 0x249, v220
	v_add_co_ci_u32_e64 v97, null, 0, 0, s1
	v_add_co_u32 v56, s1, s2, v80
	v_add_co_ci_u32_e64 v57, null, s3, 0, s1
	v_lshlrev_b64 v[52:53], 5, v[52:53]
	v_add_co_u32 v54, s1, 0x27d0, v56
	v_add_co_ci_u32_e64 v55, s1, 0, v57, s1
	s_mov_b32 s9, 0xbfebb67a
	v_add_co_u32 v58, s1, s2, v52
	v_add_co_ci_u32_e64 v59, s1, s3, v53, s1
	v_add_co_u32 v52, s1, 0x2000, v56
	v_add_co_ci_u32_e64 v53, s1, 0, v57, s1
	;; [unrolled: 2-line block ×4, first 2 shown]
	v_add_co_u32 v98, s1, 0xffffffbf, v220
	v_add_co_ci_u32_e64 v99, null, 0, -1, s1
	s_clause 0x1
	global_load_dwordx4 v[88:91], v[52:53], off offset:2000
	global_load_dwordx4 v[92:95], v[54:55], off offset:16
	v_add_nc_u32_e32 v54, 0x30c0, v80
	v_cndmask_b32_e64 v52, v98, v96, s0
	v_cndmask_b32_e64 v53, v99, v97, s0
	s_clause 0x1
	global_load_dwordx4 v[80:83], v[58:59], off offset:2000
	global_load_dwordx4 v[84:87], v[56:57], off offset:16
	v_add_co_u32 v56, s1, s2, v54
	v_add_co_ci_u32_e64 v57, null, s3, 0, s1
	v_lshlrev_b64 v[52:53], 5, v[52:53]
	v_add_co_u32 v54, s1, 0x27d0, v56
	v_add_co_ci_u32_e64 v55, s1, 0, v57, s1
	v_add_co_u32 v58, s1, s2, v52
	v_add_co_ci_u32_e64 v59, s1, s3, v53, s1
	;; [unrolled: 2-line block ×5, first 2 shown]
	s_clause 0x3
	global_load_dwordx4 v[96:99], v[52:53], off offset:2000
	global_load_dwordx4 v[100:103], v[54:55], off offset:16
	;; [unrolled: 1-line block ×4, first 2 shown]
	s_mov_b32 s2, 0xe8584caa
	s_mov_b32 s3, 0x3febb67a
	;; [unrolled: 1-line block ×3, first 2 shown]
	s_waitcnt vmcnt(7) lgkmcnt(4)
	v_mul_f64 v[152:153], v[150:151], v[90:91]
	v_mul_f64 v[154:155], v[148:149], v[90:91]
	s_waitcnt vmcnt(6)
	v_mul_f64 v[156:157], v[142:143], v[94:95]
	v_mul_f64 v[158:159], v[140:141], v[94:95]
	s_waitcnt vmcnt(5) lgkmcnt(2)
	v_mul_f64 v[161:162], v[146:147], v[82:83]
	s_waitcnt vmcnt(4)
	v_mul_f64 v[163:164], v[130:131], v[86:87]
	v_mul_f64 v[165:166], v[144:145], v[82:83]
	;; [unrolled: 1-line block ×3, first 2 shown]
	v_fma_f64 v[148:149], v[148:149], v[88:89], -v[152:153]
	v_fma_f64 v[150:151], v[150:151], v[88:89], v[154:155]
	v_fma_f64 v[140:141], v[140:141], v[92:93], -v[156:157]
	v_fma_f64 v[142:143], v[142:143], v[92:93], v[158:159]
	v_fma_f64 v[144:145], v[144:145], v[80:81], -v[161:162]
	v_fma_f64 v[128:129], v[128:129], v[84:85], -v[163:164]
	v_fma_f64 v[146:147], v[146:147], v[80:81], v[165:166]
	v_fma_f64 v[130:131], v[130:131], v[84:85], v[167:168]
	s_waitcnt vmcnt(3) lgkmcnt(1)
	v_mul_f64 v[169:170], v[134:135], v[98:99]
	s_waitcnt vmcnt(2) lgkmcnt(0)
	v_mul_f64 v[171:172], v[138:139], v[102:103]
	v_mul_f64 v[173:174], v[132:133], v[98:99]
	;; [unrolled: 1-line block ×3, first 2 shown]
	s_waitcnt vmcnt(1)
	v_mul_f64 v[177:178], v[106:107], v[54:55]
	s_waitcnt vmcnt(0)
	v_mul_f64 v[179:180], v[110:111], v[58:59]
	v_mul_f64 v[181:182], v[104:105], v[54:55]
	;; [unrolled: 1-line block ×3, first 2 shown]
	v_add_f64 v[163:164], v[120:121], v[148:149]
	v_add_f64 v[152:153], v[148:149], v[140:141]
	;; [unrolled: 1-line block ×3, first 2 shown]
	v_add_f64 v[167:168], v[150:151], -v[142:143]
	v_add_f64 v[156:157], v[144:145], v[128:129]
	v_add_f64 v[150:151], v[122:123], v[150:151]
	;; [unrolled: 1-line block ×3, first 2 shown]
	v_add_f64 v[185:186], v[144:145], -v[128:129]
	v_fma_f64 v[132:133], v[132:133], v[96:97], -v[169:170]
	v_fma_f64 v[136:137], v[136:137], v[100:101], -v[171:172]
	v_fma_f64 v[134:135], v[134:135], v[96:97], v[173:174]
	v_fma_f64 v[138:139], v[138:139], v[100:101], v[175:176]
	v_fma_f64 v[104:105], v[104:105], v[52:53], -v[177:178]
	v_fma_f64 v[108:109], v[108:109], v[56:57], -v[179:180]
	v_fma_f64 v[106:107], v[106:107], v[52:53], v[181:182]
	v_fma_f64 v[110:111], v[110:111], v[56:57], v[183:184]
	v_add_f64 v[173:174], v[148:149], -v[140:141]
	v_add_f64 v[148:149], v[116:117], v[144:145]
	v_add_f64 v[175:176], v[118:119], v[146:147]
	v_add_f64 v[146:147], v[146:147], -v[130:131]
	v_fma_f64 v[152:153], v[152:153], -0.5, v[120:121]
	v_fma_f64 v[154:155], v[154:155], -0.5, v[122:123]
	;; [unrolled: 1-line block ×4, first 2 shown]
	v_add_f64 v[177:178], v[124:125], v[132:133]
	v_add_f64 v[161:162], v[132:133], v[136:137]
	;; [unrolled: 1-line block ×8, first 2 shown]
	v_add_f64 v[187:188], v[134:135], -v[138:139]
	v_add_f64 v[189:190], v[132:133], -v[136:137]
	v_add_f64 v[106:107], v[106:107], -v[110:111]
	v_add_f64 v[104:105], v[104:105], -v[108:109]
	v_add_f64 v[148:149], v[148:149], v[128:129]
	v_fma_f64 v[156:157], v[167:168], s[2:3], v[152:153]
	v_fma_f64 v[152:153], v[167:168], s[8:9], v[152:153]
	;; [unrolled: 1-line block ×5, first 2 shown]
	v_add_f64 v[132:133], v[177:178], v[136:137]
	v_fma_f64 v[124:125], v[161:162], -0.5, v[124:125]
	v_add_f64 v[134:135], v[179:180], v[138:139]
	v_fma_f64 v[126:127], v[165:166], -0.5, v[126:127]
	;; [unrolled: 2-line block ×4, first 2 shown]
	v_add_f64 v[114:115], v[150:151], v[142:143]
	v_add_f64 v[150:151], v[175:176], v[130:131]
	;; [unrolled: 1-line block ×3, first 2 shown]
	v_fma_f64 v[140:141], v[146:147], s[8:9], v[116:117]
	v_fma_f64 v[146:147], v[185:186], s[8:9], v[118:119]
	v_fma_f64 v[142:143], v[185:186], s[2:3], v[118:119]
	v_fma_f64 v[136:137], v[187:188], s[2:3], v[124:125]
	v_fma_f64 v[128:129], v[187:188], s[8:9], v[124:125]
	v_fma_f64 v[138:139], v[189:190], s[8:9], v[126:127]
	v_fma_f64 v[130:131], v[189:190], s[2:3], v[126:127]
	v_fma_f64 v[124:125], v[106:107], s[2:3], v[161:162]
	v_fma_f64 v[116:117], v[106:107], s[8:9], v[161:162]
	v_fma_f64 v[126:127], v[104:105], s[8:9], v[163:164]
	v_fma_f64 v[118:119], v[104:105], s[2:3], v[163:164]
	ds_write_b128 v160, v[112:115]
	ds_write_b128 v160, v[156:159] offset:10400
	ds_write_b128 v160, v[152:155] offset:20800
	;; [unrolled: 1-line block ×8, first 2 shown]
	s_and_saveexec_b32 s1, s0
	s_cbranch_execz .LBB0_11
; %bb.10:
	ds_write_b128 v160, v[120:123] offset:9360
	ds_write_b128 v160, v[124:127] offset:19760
	ds_write_b128 v160, v[116:119] offset:30160
.LBB0_11:
	s_or_b32 exec_lo, exec_lo, s1
	s_waitcnt lgkmcnt(0)
	s_barrier
	buffer_gl0_inv
	s_and_saveexec_b32 s2, vcc_lo
	s_cbranch_execz .LBB0_13
; %bb.12:
	v_add_co_u32 v108, s1, s14, v255
	v_add_co_ci_u32_e64 v109, null, s15, 0, s1
	v_mov_b32_e32 v226, v220
	v_add_co_u32 v104, s1, 0x7800, v108
	v_add_co_ci_u32_e64 v105, s1, 0, v109, s1
	v_add_co_u32 v110, s1, 0x8000, v108
	v_add_co_ci_u32_e64 v111, s1, 0, v109, s1
	global_load_dwordx4 v[104:107], v[104:105], off offset:480
	v_add_co_u32 v165, s1, 0x8800, v108
	v_add_co_ci_u32_e64 v166, s1, 0, v109, s1
	s_clause 0x1
	global_load_dwordx4 v[161:164], v[110:111], off offset:832
	global_load_dwordx4 v[165:168], v[165:166], off offset:1184
	v_add_co_u32 v110, s1, 0x9000, v108
	v_add_co_ci_u32_e64 v111, s1, 0, v109, s1
	global_load_dwordx4 v[169:172], v[110:111], off offset:1536
	v_add_co_u32 v110, s1, 0x9800, v108
	v_add_co_ci_u32_e64 v111, s1, 0, v109, s1
	;; [unrolled: 3-line block ×3, first 2 shown]
	v_add_co_u32 v181, s1, 0xb000, v108
	v_add_co_ci_u32_e64 v182, s1, 0, v109, s1
	s_clause 0x1
	global_load_dwordx4 v[177:180], v[110:111], off offset:192
	global_load_dwordx4 v[181:184], v[181:182], off offset:544
	v_add_co_u32 v110, s1, 0xb800, v108
	v_add_co_ci_u32_e64 v111, s1, 0, v109, s1
	v_add_co_u32 v189, s1, 0xc000, v108
	v_add_co_ci_u32_e64 v190, s1, 0, v109, s1
	s_clause 0x1
	global_load_dwordx4 v[185:188], v[110:111], off offset:896
	global_load_dwordx4 v[189:192], v[189:190], off offset:1248
	v_add_co_u32 v110, s1, 0xc800, v108
	v_add_co_ci_u32_e64 v111, s1, 0, v109, s1
	global_load_dwordx4 v[193:196], v[110:111], off offset:1600
	v_add_co_u32 v110, s1, 0xd000, v108
	v_add_co_ci_u32_e64 v111, s1, 0, v109, s1
	v_add_co_u32 v201, s1, 0xe000, v108
	v_add_co_ci_u32_e64 v202, s1, 0, v109, s1
	;; [unrolled: 2-line block ×3, first 2 shown]
	s_clause 0x2
	global_load_dwordx4 v[197:200], v[110:111], off offset:1952
	global_load_dwordx4 v[108:111], v[201:202], off offset:256
	global_load_dwordx4 v[201:204], v[203:204], off offset:608
	ds_read_b128 v[210:213], v160
	s_waitcnt vmcnt(12) lgkmcnt(0)
	v_mul_f64 v[207:208], v[212:213], v[106:107]
	v_mul_f64 v[106:107], v[210:211], v[106:107]
	v_fma_f64 v[210:211], v[210:211], v[104:105], -v[207:208]
	v_fma_f64 v[212:213], v[212:213], v[104:105], v[106:107]
	ds_write_b128 v160, v[210:213]
	ds_read_b128 v[104:107], v255 offset:2400
	ds_read_b128 v[210:213], v255 offset:4800
	;; [unrolled: 1-line block ×4, first 2 shown]
	s_waitcnt vmcnt(11) lgkmcnt(3)
	v_mul_f64 v[207:208], v[106:107], v[163:164]
	v_mul_f64 v[163:164], v[104:105], v[163:164]
	s_waitcnt vmcnt(10) lgkmcnt(2)
	v_mul_f64 v[222:223], v[212:213], v[167:168]
	v_mul_f64 v[167:168], v[210:211], v[167:168]
	v_fma_f64 v[104:105], v[104:105], v[161:162], -v[207:208]
	s_waitcnt vmcnt(9) lgkmcnt(1)
	v_mul_f64 v[207:208], v[216:217], v[171:172]
	v_fma_f64 v[106:107], v[106:107], v[161:162], v[163:164]
	v_mul_f64 v[171:172], v[214:215], v[171:172]
	v_fma_f64 v[161:162], v[210:211], v[165:166], -v[222:223]
	s_waitcnt vmcnt(8) lgkmcnt(0)
	v_mul_f64 v[222:223], v[220:221], v[175:176]
	v_mul_f64 v[175:176], v[218:219], v[175:176]
	v_fma_f64 v[163:164], v[212:213], v[165:166], v[167:168]
	ds_read_b128 v[165:168], v255 offset:12000
	ds_read_b128 v[210:213], v255 offset:14400
	v_fma_f64 v[214:215], v[214:215], v[169:170], -v[207:208]
	v_fma_f64 v[216:217], v[216:217], v[169:170], v[171:172]
	s_waitcnt vmcnt(7) lgkmcnt(1)
	v_mul_f64 v[207:208], v[167:168], v[179:180]
	v_mul_f64 v[179:180], v[165:166], v[179:180]
	s_waitcnt vmcnt(6) lgkmcnt(0)
	v_mul_f64 v[224:225], v[212:213], v[183:184]
	v_fma_f64 v[169:170], v[218:219], v[173:174], -v[222:223]
	v_fma_f64 v[171:172], v[220:221], v[173:174], v[175:176]
	ds_read_b128 v[173:176], v255 offset:16800
	ds_read_b128 v[218:221], v255 offset:19200
	v_mul_f64 v[183:184], v[210:211], v[183:184]
	v_fma_f64 v[165:166], v[165:166], v[177:178], -v[207:208]
	v_fma_f64 v[167:168], v[167:168], v[177:178], v[179:180]
	v_fma_f64 v[177:178], v[210:211], v[181:182], -v[224:225]
	s_waitcnt vmcnt(5) lgkmcnt(1)
	v_mul_f64 v[207:208], v[175:176], v[187:188]
	v_mul_f64 v[187:188], v[173:174], v[187:188]
	s_waitcnt vmcnt(4) lgkmcnt(0)
	v_mul_f64 v[222:223], v[220:221], v[191:192]
	v_mul_f64 v[191:192], v[218:219], v[191:192]
	v_fma_f64 v[179:180], v[212:213], v[181:182], v[183:184]
	ds_read_b128 v[181:184], v255 offset:21600
	ds_read_b128 v[210:213], v255 offset:24000
	v_fma_f64 v[173:174], v[173:174], v[185:186], -v[207:208]
	v_fma_f64 v[175:176], v[175:176], v[185:186], v[187:188]
	v_fma_f64 v[185:186], v[218:219], v[189:190], -v[222:223]
	s_waitcnt vmcnt(3) lgkmcnt(1)
	v_mul_f64 v[207:208], v[183:184], v[195:196]
	ds_read_b128 v[222:225], v255 offset:26400
	v_fma_f64 v[187:188], v[220:221], v[189:190], v[191:192]
	ds_read_b128 v[189:192], v255 offset:28800
	v_mul_f64 v[195:196], v[181:182], v[195:196]
	s_waitcnt vmcnt(2) lgkmcnt(2)
	v_mul_f64 v[218:219], v[212:213], v[199:200]
	v_mul_f64 v[199:200], v[210:211], v[199:200]
	v_fma_f64 v[181:182], v[181:182], v[193:194], -v[207:208]
	s_waitcnt vmcnt(1) lgkmcnt(1)
	v_mul_f64 v[207:208], v[224:225], v[110:111]
	v_mul_f64 v[110:111], v[222:223], v[110:111]
	s_waitcnt vmcnt(0) lgkmcnt(0)
	v_mul_f64 v[220:221], v[191:192], v[203:204]
	v_mul_f64 v[203:204], v[189:190], v[203:204]
	v_fma_f64 v[183:184], v[183:184], v[193:194], v[195:196]
	v_fma_f64 v[193:194], v[210:211], v[197:198], -v[218:219]
	v_fma_f64 v[195:196], v[212:213], v[197:198], v[199:200]
	v_fma_f64 v[197:198], v[222:223], v[108:109], -v[207:208]
	;; [unrolled: 2-line block ×3, first 2 shown]
	v_fma_f64 v[110:111], v[191:192], v[201:202], v[203:204]
	v_mov_b32_e32 v220, v226
	ds_write_b128 v255, v[104:107] offset:2400
	ds_write_b128 v255, v[161:164] offset:4800
	;; [unrolled: 1-line block ×12, first 2 shown]
.LBB0_13:
	s_or_b32 exec_lo, exec_lo, s2
	s_waitcnt lgkmcnt(0)
	s_barrier
	buffer_gl0_inv
	s_and_saveexec_b32 s1, vcc_lo
	s_cbranch_execz .LBB0_15
; %bb.14:
	ds_read_b128 v[112:115], v160
	ds_read_b128 v[156:159], v160 offset:2400
	ds_read_b128 v[152:155], v160 offset:4800
	;; [unrolled: 1-line block ×12, first 2 shown]
.LBB0_15:
	s_or_b32 exec_lo, exec_lo, s1
	s_waitcnt lgkmcnt(0)
	v_add_f64 v[179:180], v[158:159], -v[2:3]
	s_mov_b32 s10, 0x42a4c3d2
	s_mov_b32 s11, 0xbfea55e2
	v_add_f64 v[177:178], v[156:157], v[0:1]
	v_add_f64 v[163:164], v[154:155], -v[118:119]
	v_add_f64 v[221:222], v[158:159], v[2:3]
	s_mov_b32 s2, 0x1ea71119
	s_mov_b32 s8, 0x2ef20147
	;; [unrolled: 1-line block ×4, first 2 shown]
	v_add_f64 v[161:162], v[152:153], v[116:117]
	v_add_f64 v[223:224], v[156:157], -v[0:1]
	v_add_f64 v[167:168], v[154:155], v[118:119]
	s_mov_b32 s16, 0xb2365da1
	s_mov_b32 s17, 0xbfd6b1d8
	v_add_f64 v[175:176], v[152:153], -v[116:117]
	v_add_f64 v[173:174], v[150:151], -v[126:127]
	v_add_f64 v[165:166], v[148:149], v[124:125]
	v_add_f64 v[171:172], v[150:151], v[126:127]
	s_mov_b32 s18, 0x93053d00
	s_mov_b32 s19, 0xbfef11f4
	v_add_f64 v[197:198], v[148:149], -v[124:125]
	v_mul_f64 v[212:213], v[179:180], s[10:11]
	v_add_f64 v[189:190], v[146:147], -v[122:123]
	s_mov_b32 s28, 0x24c2f84
	s_mov_b32 s29, 0x3fe5384d
	v_mul_f64 v[214:215], v[163:164], s[8:9]
	v_mul_f64 v[245:246], v[221:222], s[2:3]
	v_add_f64 v[169:170], v[144:145], v[120:121]
	v_add_f64 v[185:186], v[146:147], v[122:123]
	s_mov_b32 s20, 0xd0032e0c
	s_mov_b32 s21, 0xbfe7f3cc
	v_add_f64 v[199:200], v[144:145], -v[120:121]
	v_add_f64 v[203:204], v[142:143], -v[130:131]
	v_mul_f64 v[216:217], v[167:168], s[16:17]
	s_mov_b32 s34, 0x66966769
	s_mov_b32 s35, 0xbfefc445
	;; [unrolled: 1-line block ×3, first 2 shown]
	v_mul_f64 v[218:219], v[173:174], s[22:23]
	s_mov_b32 s30, s34
	v_mul_f64 v[225:226], v[171:172], s[18:19]
	v_add_f64 v[183:184], v[140:141], v[128:129]
	s_mov_b32 s24, 0xebaa3ed8
	s_mov_b32 s25, 0x3fbedb7d
	v_fma_f64 v[104:105], v[177:178], s[2:3], -v[212:213]
	v_mul_f64 v[227:228], v[189:190], s[28:29]
	v_add_f64 v[191:192], v[142:143], v[130:131]
	v_mul_f64 v[110:111], v[163:164], s[22:23]
	v_fma_f64 v[106:107], v[161:162], s[16:17], -v[214:215]
	v_fma_f64 v[108:109], v[223:224], s[10:11], v[245:246]
	v_add_f64 v[207:208], v[140:141], -v[128:129]
	v_mul_f64 v[233:234], v[185:186], s[20:21]
	v_add_f64 v[187:188], v[134:135], -v[138:139]
	s_mov_b32 s41, 0x3fddbe06
	s_mov_b32 s40, 0x4267c47c
	v_mul_f64 v[229:230], v[203:204], s[30:31]
	v_add_f64 v[181:182], v[132:133], v[136:137]
	v_add_f64 v[193:194], v[134:135], v[138:139]
	s_mov_b32 s26, 0xe00740e9
	s_mov_b32 s27, 0x3fec55a7
	v_add_f64 v[195:196], v[132:133], -v[136:137]
	v_mul_f64 v[253:254], v[179:180], s[34:35]
	v_mul_f64 v[201:202], v[221:222], s[24:25]
	s_mov_b32 s39, 0x3fedeba7
	s_mov_b32 s38, s8
	v_mul_f64 v[247:248], v[167:168], s[18:19]
	v_add_f64 v[104:105], v[112:113], v[104:105]
	v_mul_f64 v[249:250], v[173:174], s[38:39]
	v_mul_f64 v[4:5], v[171:172], s[16:17]
	;; [unrolled: 1-line block ×4, first 2 shown]
	s_mov_b32 s37, 0xbfe5384d
	s_mov_b32 s36, s28
	v_mul_f64 v[235:236], v[187:188], s[40:41]
	v_mul_f64 v[12:13], v[187:188], s[36:37]
	v_mul_f64 v[243:244], v[193:194], s[26:27]
	v_mul_f64 v[14:15], v[193:194], s[20:21]
	v_fma_f64 v[231:232], v[175:176], s[22:23], v[247:248]
	v_add_f64 v[104:105], v[106:107], v[104:105]
	v_add_f64 v[106:107], v[114:115], v[108:109]
	v_fma_f64 v[108:109], v[175:176], s[8:9], v[216:217]
	v_fma_f64 v[237:238], v[165:166], s[16:17], -v[249:250]
	v_fma_f64 v[251:252], v[181:182], s[20:21], -v[12:13]
	v_fma_f64 v[210:211], v[195:196], s[36:37], v[14:15]
	v_add_f64 v[106:107], v[108:109], v[106:107]
	v_fma_f64 v[108:109], v[165:166], s[18:19], -v[218:219]
	v_add_f64 v[104:105], v[108:109], v[104:105]
	v_fma_f64 v[108:109], v[197:198], s[22:23], v[225:226]
	v_add_f64 v[106:107], v[108:109], v[106:107]
	v_fma_f64 v[108:109], v[169:170], s[20:21], -v[227:228]
	v_add_f64 v[104:105], v[108:109], v[104:105]
	;; [unrolled: 4-line block ×3, first 2 shown]
	v_mul_f64 v[108:109], v[191:192], s[24:25]
	buffer_store_dword v108, off, s[48:51], 0 offset:60 ; 4-byte Folded Spill
	buffer_store_dword v109, off, s[48:51], 0 offset:64 ; 4-byte Folded Spill
	;; [unrolled: 1-line block ×4, first 2 shown]
	s_waitcnt_vscnt null, 0x0
	s_barrier
	buffer_gl0_inv
	v_fma_f64 v[108:109], v[207:208], s[30:31], v[108:109]
	v_fma_f64 v[110:111], v[161:162], s[18:19], -v[110:111]
	v_add_f64 v[106:107], v[108:109], v[106:107]
	v_fma_f64 v[108:109], v[181:182], s[26:27], -v[235:236]
	v_add_f64 v[104:105], v[108:109], v[104:105]
	v_fma_f64 v[108:109], v[195:196], s[40:41], v[243:244]
	v_add_f64 v[106:107], v[108:109], v[106:107]
	v_fma_f64 v[108:109], v[177:178], s[24:25], -v[253:254]
	v_add_f64 v[108:109], v[112:113], v[108:109]
	v_add_f64 v[108:109], v[110:111], v[108:109]
	v_fma_f64 v[110:111], v[223:224], s[34:35], v[201:202]
	v_add_f64 v[108:109], v[237:238], v[108:109]
	v_add_f64 v[110:111], v[114:115], v[110:111]
	v_fma_f64 v[237:238], v[197:198], s[38:39], v[4:5]
	v_add_f64 v[110:111], v[231:232], v[110:111]
	v_add_f64 v[110:111], v[237:238], v[110:111]
	v_mul_f64 v[237:238], v[189:190], s[40:41]
	v_fma_f64 v[239:240], v[169:170], s[26:27], -v[237:238]
	v_add_f64 v[108:109], v[239:240], v[108:109]
	v_fma_f64 v[239:240], v[199:200], s[40:41], v[10:11]
	v_add_f64 v[110:111], v[239:240], v[110:111]
	v_mul_f64 v[239:240], v[203:204], s[10:11]
	v_fma_f64 v[241:242], v[183:184], s[2:3], -v[239:240]
	v_add_f64 v[108:109], v[241:242], v[108:109]
	v_fma_f64 v[241:242], v[207:208], s[10:11], v[8:9]
	v_add_f64 v[108:109], v[251:252], v[108:109]
	v_add_f64 v[110:111], v[241:242], v[110:111]
	;; [unrolled: 1-line block ×3, first 2 shown]
	s_and_saveexec_b32 s1, vcc_lo
	s_cbranch_execz .LBB0_17
; %bb.16:
	v_add_f64 v[156:157], v[112:113], v[156:157]
	v_add_f64 v[158:159], v[114:115], v[158:159]
	v_mov_b32_e32 v242, v236
	v_mov_b32_e32 v241, v235
	;; [unrolled: 1-line block ×13, first 2 shown]
	v_mul_f64 v[218:219], v[195:196], s[30:31]
	v_mov_b32_e32 v233, v225
	v_mul_f64 v[225:226], v[187:188], s[30:31]
	v_mov_b32_e32 v252, v238
	v_mov_b32_e32 v251, v237
	;; [unrolled: 1-line block ×4, first 2 shown]
	v_add_f64 v[152:153], v[156:157], v[152:153]
	v_add_f64 v[154:155], v[158:159], v[154:155]
	v_mul_f64 v[156:157], v[179:180], s[22:23]
	v_mul_f64 v[158:159], v[179:180], s[36:37]
	v_mov_b32_e32 v230, v217
	v_mov_b32_e32 v229, v216
	v_add_f64 v[148:149], v[152:153], v[148:149]
	v_add_f64 v[150:151], v[154:155], v[150:151]
	v_fma_f64 v[210:211], v[177:178], s[18:19], -v[156:157]
	v_fma_f64 v[156:157], v[177:178], s[18:19], v[156:157]
	v_add_f64 v[144:145], v[148:149], v[144:145]
	v_add_f64 v[146:147], v[150:151], v[146:147]
	;; [unrolled: 1-line block ×5, first 2 shown]
	v_mul_f64 v[144:145], v[223:224], s[8:9]
	v_add_f64 v[132:133], v[140:141], v[132:133]
	v_add_f64 v[134:135], v[142:143], v[134:135]
	v_mul_f64 v[140:141], v[223:224], s[22:23]
	v_mul_f64 v[142:143], v[223:224], s[36:37]
	v_fma_f64 v[152:153], v[221:222], s[16:17], v[144:145]
	v_fma_f64 v[144:145], v[221:222], s[16:17], -v[144:145]
	v_add_f64 v[132:133], v[132:133], v[136:137]
	v_add_f64 v[134:135], v[134:135], v[138:139]
	v_mul_f64 v[136:137], v[173:174], s[40:41]
	v_mul_f64 v[138:139], v[203:204], s[40:41]
	v_fma_f64 v[148:149], v[221:222], s[18:19], v[140:141]
	v_fma_f64 v[140:141], v[221:222], s[18:19], -v[140:141]
	v_fma_f64 v[150:151], v[221:222], s[20:21], v[142:143]
	v_fma_f64 v[142:143], v[221:222], s[20:21], -v[142:143]
	v_add_f64 v[152:153], v[114:115], v[152:153]
	v_add_f64 v[144:145], v[114:115], v[144:145]
	;; [unrolled: 1-line block ×4, first 2 shown]
	v_mul_f64 v[132:133], v[207:208], s[40:41]
	v_mul_f64 v[134:135], v[197:198], s[40:41]
	v_add_f64 v[148:149], v[114:115], v[148:149]
	v_add_f64 v[140:141], v[114:115], v[140:141]
	;; [unrolled: 1-line block ×6, first 2 shown]
	v_mul_f64 v[128:129], v[199:200], s[40:41]
	v_mul_f64 v[130:131], v[195:196], s[40:41]
	v_add_f64 v[120:121], v[120:121], v[124:125]
	v_add_f64 v[122:123], v[122:123], v[126:127]
	v_mul_f64 v[124:125], v[175:176], s[40:41]
	v_mul_f64 v[126:127], v[163:164], s[40:41]
	s_mov_b32 s41, 0xbfddbe06
	v_add_f64 v[130:131], v[243:244], -v[130:131]
	v_mul_f64 v[146:147], v[223:224], s[40:41]
	v_add_f64 v[128:129], v[10:11], -v[128:129]
	v_add_f64 v[116:117], v[120:121], v[116:117]
	v_add_f64 v[118:119], v[122:123], v[118:119]
	v_mul_f64 v[120:121], v[177:178], s[2:3]
	v_mul_f64 v[122:123], v[177:178], s[24:25]
	v_fma_f64 v[154:155], v[221:222], s[26:27], -v[146:147]
	v_fma_f64 v[146:147], v[221:222], s[26:27], v[146:147]
	v_fma_f64 v[221:222], v[177:178], s[20:21], -v[158:159]
	v_fma_f64 v[158:159], v[177:178], s[20:21], v[158:159]
	v_add_f64 v[0:1], v[116:117], v[0:1]
	v_mul_f64 v[116:117], v[223:224], s[34:35]
	v_add_f64 v[2:3], v[118:119], v[2:3]
	v_mul_f64 v[118:119], v[223:224], s[10:11]
	v_add_f64 v[120:121], v[120:121], v[212:213]
	v_add_f64 v[122:123], v[122:123], v[253:254]
	;; [unrolled: 1-line block ×5, first 2 shown]
	v_add_f64 v[116:117], v[201:202], -v[116:117]
	v_mul_f64 v[201:202], v[179:180], s[8:9]
	v_mul_f64 v[179:180], v[179:180], s[40:41]
	v_add_f64 v[118:119], v[245:246], -v[118:119]
	v_add_f64 v[120:121], v[112:113], v[120:121]
	v_add_f64 v[212:213], v[112:113], v[122:123]
	s_mov_b32 s41, 0x3fea55e2
	s_mov_b32 s40, s10
	v_fma_f64 v[223:224], v[177:178], s[16:17], -v[201:202]
	v_fma_f64 v[201:202], v[177:178], s[16:17], v[201:202]
	v_fma_f64 v[245:246], v[177:178], s[26:27], v[179:180]
	v_fma_f64 v[177:178], v[177:178], s[26:27], -v[179:180]
	v_add_f64 v[179:180], v[112:113], v[210:211]
	v_add_f64 v[210:211], v[112:113], v[221:222]
	;; [unrolled: 1-line block ×8, first 2 shown]
	v_fma_f64 v[112:113], v[167:168], s[26:27], v[124:125]
	v_mul_f64 v[116:117], v[197:198], s[36:37]
	v_fma_f64 v[114:115], v[161:162], s[26:27], -v[126:127]
	v_fma_f64 v[124:125], v[167:168], s[26:27], -v[124:125]
	v_fma_f64 v[126:127], v[161:162], s[26:27], v[126:127]
	v_add_f64 v[112:113], v[112:113], v[148:149]
	v_fma_f64 v[118:119], v[171:172], s[20:21], v[116:117]
	v_add_f64 v[114:115], v[114:115], v[179:180]
	v_add_f64 v[124:125], v[124:125], v[140:141]
	v_fma_f64 v[116:117], v[171:172], s[20:21], -v[116:117]
	v_add_f64 v[126:127], v[126:127], v[156:157]
	v_mul_f64 v[140:141], v[165:166], s[18:19]
	v_mul_f64 v[156:157], v[169:170], s[20:21]
	v_add_f64 v[112:113], v[118:119], v[112:113]
	v_mul_f64 v[118:119], v[173:174], s[36:37]
	v_add_f64 v[116:117], v[116:117], v[124:125]
	v_fma_f64 v[124:125], v[181:182], s[24:25], v[225:226]
	v_add_f64 v[140:141], v[140:141], v[231:232]
	v_add_f64 v[156:157], v[156:157], v[235:236]
	v_fma_f64 v[122:123], v[165:166], s[20:21], -v[118:119]
	v_fma_f64 v[118:119], v[165:166], s[20:21], v[118:119]
	v_add_f64 v[114:115], v[122:123], v[114:115]
	v_mul_f64 v[122:123], v[199:200], s[40:41]
	v_add_f64 v[118:119], v[118:119], v[126:127]
	v_mul_f64 v[126:127], v[197:198], s[22:23]
	v_fma_f64 v[148:149], v[185:186], s[2:3], v[122:123]
	v_fma_f64 v[122:123], v[185:186], s[2:3], -v[122:123]
	v_add_f64 v[126:127], v[233:234], -v[126:127]
	v_add_f64 v[112:113], v[148:149], v[112:113]
	v_mul_f64 v[148:149], v[189:190], s[40:41]
	v_add_f64 v[116:117], v[122:123], v[116:117]
	v_fma_f64 v[179:180], v[169:170], s[2:3], -v[148:149]
	v_fma_f64 v[122:123], v[169:170], s[2:3], v[148:149]
	v_mul_f64 v[148:149], v[199:200], s[28:29]
	v_add_f64 v[114:115], v[179:180], v[114:115]
	v_mul_f64 v[179:180], v[207:208], s[8:9]
	v_add_f64 v[118:119], v[122:123], v[118:119]
	v_add_f64 v[148:149], v[239:240], -v[148:149]
	v_fma_f64 v[214:215], v[191:192], s[16:17], v[179:180]
	v_fma_f64 v[122:123], v[191:192], s[16:17], -v[179:180]
	s_clause 0x1
	buffer_load_dword v179, off, s[48:51], 0 offset:60
	buffer_load_dword v180, off, s[48:51], 0 offset:64
	v_add_f64 v[112:113], v[214:215], v[112:113]
	v_mul_f64 v[214:215], v[203:204], s[8:9]
	v_add_f64 v[116:117], v[122:123], v[116:117]
	v_fma_f64 v[122:123], v[183:184], s[16:17], v[214:215]
	v_fma_f64 v[216:217], v[183:184], s[16:17], -v[214:215]
	v_add_f64 v[122:123], v[122:123], v[118:119]
	v_fma_f64 v[118:119], v[193:194], s[24:25], -v[218:219]
	v_add_f64 v[216:217], v[216:217], v[114:115]
	v_fma_f64 v[114:115], v[193:194], s[24:25], v[218:219]
	v_add_f64 v[118:119], v[118:119], v[116:117]
	v_add_f64 v[116:117], v[124:125], v[122:123]
	v_mul_f64 v[122:123], v[175:176], s[8:9]
	v_mul_f64 v[124:125], v[161:162], s[16:17]
	v_add_f64 v[114:115], v[114:115], v[112:113]
	v_fma_f64 v[112:113], v[181:182], s[24:25], -v[225:226]
	v_mul_f64 v[225:226], v[187:188], s[22:23]
	v_add_f64 v[122:123], v[229:230], -v[122:123]
	v_add_f64 v[124:125], v[124:125], v[227:228]
	v_add_f64 v[112:113], v[112:113], v[216:217]
	;; [unrolled: 1-line block ×4, first 2 shown]
	v_mul_f64 v[124:125], v[207:208], s[30:31]
	v_add_f64 v[122:123], v[126:127], v[122:123]
	v_add_f64 v[120:121], v[140:141], v[120:121]
	v_mul_f64 v[126:127], v[183:184], s[24:25]
	v_mul_f64 v[140:141], v[181:182], s[26:27]
	v_add_f64 v[122:123], v[148:149], v[122:123]
	v_add_f64 v[120:121], v[156:157], v[120:121]
	;; [unrolled: 1-line block ×4, first 2 shown]
	v_mul_f64 v[148:149], v[169:170], s[26:27]
	v_mul_f64 v[156:157], v[207:208], s[10:11]
	v_add_f64 v[120:121], v[126:127], v[120:121]
	v_mul_f64 v[126:127], v[161:162], s[18:19]
	v_add_f64 v[148:149], v[148:149], v[251:252]
	v_add_f64 v[156:157], v[8:9], -v[156:157]
	v_add_f64 v[120:121], v[140:141], v[120:121]
	v_mul_f64 v[140:141], v[165:166], s[16:17]
	v_add_f64 v[140:141], v[140:141], v[249:250]
	s_waitcnt vmcnt(0)
	v_add_f64 v[124:125], v[179:180], -v[124:125]
	v_mul_f64 v[179:180], v[183:184], s[2:3]
	v_add_f64 v[122:123], v[124:125], v[122:123]
	v_mul_f64 v[124:125], v[175:176], s[22:23]
	v_add_f64 v[179:180], v[179:180], v[6:7]
	v_add_f64 v[122:123], v[130:131], v[122:123]
	s_clause 0x1
	buffer_load_dword v130, off, s[48:51], 0 offset:68
	buffer_load_dword v131, off, s[48:51], 0 offset:72
	v_add_f64 v[124:125], v[247:248], -v[124:125]
	v_add_f64 v[124:125], v[124:125], v[223:224]
	v_mul_f64 v[223:224], v[195:196], s[22:23]
	s_mov_b32 s23, 0x3fcea1e5
	s_waitcnt vmcnt(0)
	v_add_f64 v[126:127], v[126:127], v[130:131]
	v_mul_f64 v[130:131], v[197:198], s[38:39]
	v_add_f64 v[126:127], v[126:127], v[212:213]
	v_add_f64 v[130:131], v[4:5], -v[130:131]
	v_add_f64 v[126:127], v[140:141], v[126:127]
	v_add_f64 v[124:125], v[130:131], v[124:125]
	v_mul_f64 v[130:131], v[195:196], s[36:37]
	v_add_f64 v[126:127], v[148:149], v[126:127]
	v_add_f64 v[124:125], v[128:129], v[124:125]
	v_mul_f64 v[128:129], v[181:182], s[20:21]
	v_add_f64 v[130:131], v[14:15], -v[130:131]
	v_mul_f64 v[148:149], v[163:164], s[10:11]
	v_add_f64 v[140:141], v[179:180], v[126:127]
	v_add_f64 v[124:125], v[156:157], v[124:125]
	;; [unrolled: 1-line block ×5, first 2 shown]
	v_mul_f64 v[140:141], v[175:176], s[10:11]
	v_fma_f64 v[130:131], v[161:162], s[2:3], v[148:149]
	v_fma_f64 v[148:149], v[161:162], s[2:3], -v[148:149]
	v_fma_f64 v[128:129], v[167:168], s[2:3], -v[140:141]
	v_add_f64 v[130:131], v[130:131], v[245:246]
	v_fma_f64 v[140:141], v[167:168], s[2:3], v[140:141]
	v_add_f64 v[148:149], v[148:149], v[177:178]
	v_add_f64 v[128:129], v[128:129], v[154:155]
	v_mul_f64 v[154:155], v[197:198], s[34:35]
	v_add_f64 v[140:141], v[140:141], v[146:147]
	v_fma_f64 v[156:157], v[171:172], s[24:25], -v[154:155]
	v_fma_f64 v[154:155], v[171:172], s[24:25], v[154:155]
	v_add_f64 v[128:129], v[156:157], v[128:129]
	v_mul_f64 v[156:157], v[173:174], s[34:35]
	v_add_f64 v[140:141], v[154:155], v[140:141]
	v_fma_f64 v[179:180], v[165:166], s[24:25], v[156:157]
	v_fma_f64 v[146:147], v[165:166], s[24:25], -v[156:157]
	v_add_f64 v[130:131], v[179:180], v[130:131]
	v_mul_f64 v[179:180], v[199:200], s[8:9]
	v_add_f64 v[146:147], v[146:147], v[148:149]
	v_fma_f64 v[212:213], v[185:186], s[16:17], -v[179:180]
	v_fma_f64 v[156:157], v[185:186], s[16:17], v[179:180]
	v_add_f64 v[128:129], v[212:213], v[128:129]
	v_mul_f64 v[212:213], v[189:190], s[8:9]
	v_add_f64 v[140:141], v[156:157], v[140:141]
	v_fma_f64 v[214:215], v[169:170], s[16:17], v[212:213]
	v_add_f64 v[130:131], v[214:215], v[130:131]
	v_mul_f64 v[214:215], v[207:208], s[36:37]
	v_mul_f64 v[207:208], v[207:208], s[22:23]
	v_fma_f64 v[216:217], v[191:192], s[20:21], -v[214:215]
	v_add_f64 v[128:129], v[216:217], v[128:129]
	v_mul_f64 v[216:217], v[203:204], s[36:37]
	v_mul_f64 v[203:204], v[203:204], s[22:23]
	v_fma_f64 v[218:219], v[183:184], s[20:21], v[216:217]
	v_fma_f64 v[156:157], v[183:184], s[20:21], -v[216:217]
	v_add_f64 v[218:219], v[218:219], v[130:131]
	v_fma_f64 v[130:131], v[193:194], s[18:19], -v[223:224]
	v_add_f64 v[130:131], v[130:131], v[128:129]
	v_fma_f64 v[128:129], v[181:182], s[18:19], v[225:226]
	v_add_f64 v[128:129], v[128:129], v[218:219]
	v_mul_f64 v[218:219], v[175:176], s[28:29]
	v_mul_f64 v[175:176], v[175:176], s[30:31]
	v_fma_f64 v[227:228], v[167:168], s[20:21], -v[218:219]
	v_add_f64 v[144:145], v[227:228], v[144:145]
	v_mul_f64 v[227:228], v[163:164], s[28:29]
	v_mul_f64 v[163:164], v[163:164], s[30:31]
	v_fma_f64 v[229:230], v[161:162], s[20:21], v[227:228]
	v_add_f64 v[201:202], v[229:230], v[201:202]
	v_fma_f64 v[229:230], v[171:172], s[26:27], -v[134:135]
	v_fma_f64 v[134:135], v[171:172], s[26:27], v[134:135]
	v_add_f64 v[144:145], v[229:230], v[144:145]
	v_fma_f64 v[229:230], v[165:166], s[26:27], v[136:137]
	v_fma_f64 v[136:137], v[165:166], s[26:27], -v[136:137]
	v_add_f64 v[201:202], v[229:230], v[201:202]
	v_mul_f64 v[229:230], v[199:200], s[34:35]
	v_fma_f64 v[231:232], v[185:186], s[24:25], -v[229:230]
	v_add_f64 v[144:145], v[231:232], v[144:145]
	v_mul_f64 v[231:232], v[189:190], s[34:35]
	v_mul_f64 v[189:190], v[189:190], s[22:23]
	v_fma_f64 v[233:234], v[169:170], s[24:25], v[231:232]
	v_fma_f64 v[154:155], v[169:170], s[24:25], -v[231:232]
	v_add_f64 v[201:202], v[233:234], v[201:202]
	v_fma_f64 v[233:234], v[191:192], s[18:19], -v[207:208]
	v_add_f64 v[144:145], v[233:234], v[144:145]
	v_fma_f64 v[233:234], v[183:184], s[18:19], v[203:204]
	v_add_f64 v[201:202], v[233:234], v[201:202]
	v_fma_f64 v[233:234], v[167:168], s[24:25], v[175:176]
	v_fma_f64 v[175:176], v[167:168], s[24:25], -v[175:176]
	v_add_f64 v[150:151], v[233:234], v[150:151]
	v_fma_f64 v[233:234], v[161:162], s[24:25], -v[163:164]
	v_fma_f64 v[163:164], v[161:162], s[24:25], v[163:164]
	v_add_f64 v[142:143], v[175:176], v[142:143]
	v_mul_f64 v[175:176], v[197:198], s[10:11]
	v_add_f64 v[210:211], v[233:234], v[210:211]
	v_add_f64 v[158:159], v[163:164], v[158:159]
	v_mul_f64 v[163:164], v[173:174], s[10:11]
	v_fma_f64 v[197:198], v[171:172], s[2:3], v[175:176]
	v_fma_f64 v[175:176], v[171:172], s[2:3], -v[175:176]
	v_fma_f64 v[173:174], v[165:166], s[2:3], -v[163:164]
	v_fma_f64 v[163:164], v[165:166], s[2:3], v[163:164]
	v_add_f64 v[142:143], v[175:176], v[142:143]
	v_mul_f64 v[175:176], v[199:200], s[22:23]
	v_add_f64 v[150:151], v[197:198], v[150:151]
	v_add_f64 v[173:174], v[173:174], v[210:211]
	;; [unrolled: 1-line block ×3, first 2 shown]
	v_fma_f64 v[163:164], v[167:168], s[20:21], v[218:219]
	v_fma_f64 v[197:198], v[185:186], s[18:19], v[175:176]
	v_fma_f64 v[175:176], v[185:186], s[18:19], -v[175:176]
	v_mul_f64 v[167:168], v[187:188], s[40:41]
	v_add_f64 v[152:153], v[163:164], v[152:153]
	v_fma_f64 v[163:164], v[161:162], s[20:21], -v[227:228]
	v_add_f64 v[150:151], v[197:198], v[150:151]
	v_fma_f64 v[197:198], v[191:192], s[26:27], v[132:133]
	v_add_f64 v[142:143], v[175:176], v[142:143]
	v_fma_f64 v[132:133], v[191:192], s[26:27], -v[132:133]
	v_fma_f64 v[175:176], v[169:170], s[18:19], v[189:190]
	v_fma_f64 v[161:162], v[169:170], s[16:17], -v[212:213]
	v_add_f64 v[134:135], v[134:135], v[152:153]
	v_add_f64 v[163:164], v[163:164], v[221:222]
	v_fma_f64 v[152:153], v[183:184], s[26:27], -v[138:139]
	v_add_f64 v[150:151], v[197:198], v[150:151]
	v_fma_f64 v[197:198], v[169:170], s[18:19], -v[189:190]
	v_add_f64 v[142:143], v[132:133], v[142:143]
	v_fma_f64 v[132:133], v[185:186], s[24:25], v[229:230]
	v_add_f64 v[158:159], v[175:176], v[158:159]
	v_fma_f64 v[138:139], v[183:184], s[26:27], v[138:139]
	v_add_f64 v[146:147], v[161:162], v[146:147]
	v_mul_f64 v[161:162], v[195:196], s[8:9]
	v_add_f64 v[136:137], v[136:137], v[163:164]
	v_add_f64 v[173:174], v[197:198], v[173:174]
	;; [unrolled: 1-line block ×4, first 2 shown]
	v_fma_f64 v[138:139], v[191:192], s[20:21], v[214:215]
	v_mul_f64 v[158:159], v[195:196], s[40:41]
	v_fma_f64 v[165:166], v[193:194], s[16:17], v[161:162]
	v_add_f64 v[156:157], v[156:157], v[146:147]
	v_add_f64 v[134:135], v[154:155], v[136:137]
	v_fma_f64 v[154:155], v[183:184], s[18:19], -v[203:204]
	v_fma_f64 v[136:137], v[191:192], s[18:19], v[207:208]
	v_add_f64 v[152:153], v[152:153], v[173:174]
	v_fma_f64 v[173:174], v[181:182], s[18:19], -v[225:226]
	v_add_f64 v[169:170], v[138:139], v[140:141]
	v_fma_f64 v[138:139], v[181:182], s[2:3], v[167:168]
	v_fma_f64 v[167:168], v[181:182], s[2:3], -v[167:168]
	v_add_f64 v[154:155], v[154:155], v[134:135]
	v_mul_f64 v[134:135], v[187:188], s[8:9]
	v_add_f64 v[163:164], v[136:137], v[132:133]
	v_fma_f64 v[132:133], v[193:194], s[2:3], -v[158:159]
	v_fma_f64 v[136:137], v[193:194], s[16:17], -v[161:162]
	v_fma_f64 v[158:159], v[193:194], s[2:3], v[158:159]
	v_fma_f64 v[161:162], v[193:194], s[18:19], v[223:224]
	;; [unrolled: 1-line block ×3, first 2 shown]
	v_fma_f64 v[171:172], v[181:182], s[16:17], -v[134:135]
	v_add_f64 v[134:135], v[132:133], v[144:145]
	v_add_f64 v[132:133], v[138:139], v[201:202]
	;; [unrolled: 1-line block ×9, first 2 shown]
	buffer_load_dword v153, off, s[48:51], 0 offset:8 ; 4-byte Folded Reload
	v_add_f64 v[148:149], v[173:174], v[156:157]
	v_mov_b32_e32 v152, 4
	s_waitcnt vmcnt(0)
	v_lshlrev_b32_sdwa v152, v152, v153 dst_sel:DWORD dst_unused:UNUSED_PAD src0_sel:DWORD src1_sel:WORD_0
	ds_write_b128 v152, v[0:3]
	ds_write_b128 v152, v[128:131] offset:16
	ds_write_b128 v152, v[120:123] offset:32
	;; [unrolled: 1-line block ×12, first 2 shown]
.LBB0_17:
	s_or_b32 exec_lo, exec_lo, s1
	s_waitcnt lgkmcnt(0)
	s_barrier
	buffer_gl0_inv
	ds_read_b128 v[0:3], v160 offset:6240
	ds_read_b128 v[112:115], v160 offset:12480
	;; [unrolled: 1-line block ×8, first 2 shown]
	s_clause 0xb
	buffer_load_dword v12, off, s[48:51], 0 offset:44
	buffer_load_dword v13, off, s[48:51], 0 offset:48
	buffer_load_dword v14, off, s[48:51], 0 offset:52
	buffer_load_dword v15, off, s[48:51], 0 offset:56
	buffer_load_dword v8, off, s[48:51], 0 offset:28
	buffer_load_dword v9, off, s[48:51], 0 offset:32
	buffer_load_dword v10, off, s[48:51], 0 offset:36
	buffer_load_dword v11, off, s[48:51], 0 offset:40
	buffer_load_dword v4, off, s[48:51], 0 offset:12
	buffer_load_dword v5, off, s[48:51], 0 offset:16
	buffer_load_dword v6, off, s[48:51], 0 offset:20
	buffer_load_dword v7, off, s[48:51], 0 offset:24
	s_mov_b32 s10, 0x134454ff
	s_mov_b32 s11, 0xbfee6f0e
	s_mov_b32 s3, 0x3fee6f0e
	s_mov_b32 s2, s10
	s_mov_b32 s16, 0x4755a5e
	s_mov_b32 s17, 0xbfe2cf23
	s_mov_b32 s9, 0x3fe2cf23
	s_mov_b32 s8, s16
	s_mov_b32 s18, 0x372fe950
	s_waitcnt lgkmcnt(7)
	v_mul_f64 v[140:141], v[34:35], v[2:3]
	v_mul_f64 v[34:35], v[34:35], v[0:1]
	s_waitcnt lgkmcnt(6)
	v_mul_f64 v[142:143], v[30:31], v[114:115]
	v_mul_f64 v[30:31], v[30:31], v[112:113]
	;; [unrolled: 3-line block ×5, first 2 shown]
	s_mov_b32 s19, 0x3fd3c6ef
	s_mov_b32 s20, 0x9b97f4a8
	;; [unrolled: 1-line block ×7, first 2 shown]
	v_fma_f64 v[140:141], v[32:33], v[0:1], v[140:141]
	v_fma_f64 v[32:33], v[32:33], v[2:3], -v[34:35]
	v_fma_f64 v[34:35], v[28:29], v[112:113], v[142:143]
	v_fma_f64 v[28:29], v[28:29], v[114:115], -v[30:31]
	;; [unrolled: 2-line block ×3, first 2 shown]
	v_fma_f64 v[112:113], v[20:21], v[122:123], -v[146:147]
	v_fma_f64 v[20:21], v[20:21], v[120:121], v[148:149]
	v_fma_f64 v[114:115], v[16:17], v[124:125], v[150:151]
	v_fma_f64 v[16:17], v[16:17], v[126:127], -v[18:19]
	ds_read_b128 v[0:3], v160
	ds_read_b128 v[22:25], v160 offset:3120
	s_waitcnt vmcnt(0) lgkmcnt(0)
	s_barrier
	buffer_gl0_inv
	v_add_f64 v[122:123], v[140:141], -v[34:35]
	v_add_f64 v[142:143], v[32:33], v[112:113]
	v_add_f64 v[126:127], v[140:141], v[20:21]
	v_add_f64 v[124:125], v[20:21], -v[30:31]
	v_add_f64 v[144:145], v[112:113], -v[26:27]
	;; [unrolled: 1-line block ×3, first 2 shown]
	v_add_f64 v[171:172], v[24:25], v[16:17]
	v_mul_f64 v[152:153], v[14:15], v[130:131]
	v_mul_f64 v[154:155], v[10:11], v[134:135]
	;; [unrolled: 1-line block ×6, first 2 shown]
	v_fma_f64 v[18:19], v[12:13], v[128:129], v[152:153]
	v_fma_f64 v[116:117], v[8:9], v[132:133], v[154:155]
	;; [unrolled: 1-line block ×3, first 2 shown]
	v_fma_f64 v[12:13], v[12:13], v[130:131], -v[14:15]
	v_fma_f64 v[8:9], v[8:9], v[134:135], -v[10:11]
	;; [unrolled: 1-line block ×3, first 2 shown]
	v_add_f64 v[6:7], v[34:35], v[30:31]
	v_add_f64 v[134:135], v[28:29], v[26:27]
	;; [unrolled: 1-line block ×4, first 2 shown]
	v_add_f64 v[10:11], v[32:33], -v[112:113]
	v_add_f64 v[128:129], v[34:35], -v[140:141]
	;; [unrolled: 1-line block ×8, first 2 shown]
	v_add_f64 v[152:153], v[22:23], v[114:115]
	v_add_f64 v[163:164], v[114:115], -v[18:19]
	v_add_f64 v[146:147], v[18:19], v[116:117]
	v_add_f64 v[150:151], v[114:115], v[118:119]
	v_add_f64 v[167:168], v[18:19], -v[114:115]
	v_add_f64 v[156:157], v[12:13], v[8:9]
	v_add_f64 v[158:159], v[16:17], v[120:121]
	v_fma_f64 v[6:7], v[6:7], -0.5, v[0:1]
	v_fma_f64 v[134:135], v[134:135], -0.5, v[2:3]
	;; [unrolled: 1-line block ×4, first 2 shown]
	v_add_f64 v[161:162], v[12:13], -v[8:9]
	v_add_f64 v[154:155], v[16:17], -v[120:121]
	;; [unrolled: 1-line block ×3, first 2 shown]
	v_add_f64 v[4:5], v[4:5], v[34:35]
	v_add_f64 v[34:35], v[122:123], v[124:125]
	v_add_f64 v[165:166], v[118:119], -v[116:117]
	v_add_f64 v[126:127], v[18:19], -v[116:117]
	;; [unrolled: 1-line block ×5, first 2 shown]
	v_add_f64 v[28:29], v[132:133], v[28:29]
	v_add_f64 v[124:125], v[128:129], v[130:131]
	;; [unrolled: 1-line block ×3, first 2 shown]
	v_fma_f64 v[146:147], v[146:147], -0.5, v[22:23]
	v_fma_f64 v[22:23], v[150:151], -0.5, v[22:23]
	v_add_f64 v[32:33], v[32:33], v[148:149]
	v_fma_f64 v[122:123], v[156:157], -0.5, v[24:25]
	v_fma_f64 v[24:25], v[158:159], -0.5, v[24:25]
	v_fma_f64 v[132:133], v[10:11], s[10:11], v[6:7]
	v_fma_f64 v[6:7], v[10:11], s[2:3], v[6:7]
	;; [unrolled: 1-line block ×8, first 2 shown]
	v_add_f64 v[169:170], v[116:117], -v[118:119]
	v_add_f64 v[18:19], v[152:153], v[18:19]
	v_add_f64 v[12:13], v[171:172], v[12:13]
	v_add_f64 v[142:143], v[120:121], -v[8:9]
	v_add_f64 v[130:131], v[163:164], v[165:166]
	v_add_f64 v[165:166], v[16:17], v[175:176]
	;; [unrolled: 1-line block ×4, first 2 shown]
	v_fma_f64 v[152:153], v[154:155], s[10:11], v[146:147]
	v_fma_f64 v[156:157], v[161:162], s[2:3], v[22:23]
	;; [unrolled: 1-line block ×16, first 2 shown]
	v_add_f64 v[150:151], v[167:168], v[169:170]
	v_add_f64 v[116:117], v[18:19], v[116:117]
	v_add_f64 v[144:145], v[12:13], v[8:9]
	v_add_f64 v[142:143], v[173:174], v[142:143]
	v_add_f64 v[0:1], v[4:5], v[20:21]
	v_add_f64 v[2:3], v[16:17], v[112:113]
	v_fma_f64 v[136:137], v[161:162], s[16:17], v[152:153]
	v_fma_f64 v[140:141], v[154:155], s[16:17], v[156:157]
	;; [unrolled: 1-line block ×16, first 2 shown]
	v_add_f64 v[20:21], v[116:117], v[118:119]
	v_fma_f64 v[24:25], v[130:131], s[18:19], v[136:137]
	v_fma_f64 v[32:33], v[150:151], s[18:19], v[140:141]
	;; [unrolled: 1-line block ×3, first 2 shown]
	v_add_f64 v[22:23], v[144:145], v[120:121]
	v_fma_f64 v[26:27], v[142:143], s[18:19], v[146:147]
	v_fma_f64 v[34:35], v[165:166], s[18:19], v[148:149]
	v_fma_f64 v[114:115], v[165:166], s[18:19], v[114:115]
	v_fma_f64 v[28:29], v[130:131], s[18:19], v[138:139]
	v_fma_f64 v[30:31], v[142:143], s[18:19], v[122:123]
	ds_write_b128 v209, v[0:3]
	ds_write_b128 v209, v[4:7] offset:208
	ds_write_b128 v209, v[12:15] offset:416
	;; [unrolled: 1-line block ×4, first 2 shown]
	ds_write_b128 v206, v[20:23]
	ds_write_b128 v206, v[24:27] offset:208
	ds_write_b128 v206, v[32:35] offset:416
	;; [unrolled: 1-line block ×4, first 2 shown]
	s_waitcnt lgkmcnt(0)
	s_barrier
	buffer_gl0_inv
	ds_read_b128 v[0:3], v160 offset:9360
	ds_read_b128 v[4:7], v160 offset:15600
	ds_read_b128 v[8:11], v160 offset:21840
	ds_read_b128 v[12:15], v160 offset:28080
	ds_read_b128 v[16:19], v160 offset:3120
	ds_read_b128 v[20:23], v160 offset:6240
	ds_read_b128 v[24:27], v160 offset:12480
	ds_read_b128 v[28:31], v160 offset:18720
	ds_read_b128 v[32:35], v160 offset:24960
	s_waitcnt lgkmcnt(8)
	v_mul_f64 v[112:113], v[42:43], v[0:1]
	s_waitcnt lgkmcnt(7)
	v_mul_f64 v[114:115], v[50:51], v[4:5]
	;; [unrolled: 2-line block ×5, first 2 shown]
	v_mul_f64 v[42:43], v[42:43], v[2:3]
	v_mul_f64 v[50:51], v[50:51], v[6:7]
	v_mul_f64 v[46:47], v[46:47], v[10:11]
	v_mul_f64 v[62:63], v[62:63], v[14:15]
	s_waitcnt lgkmcnt(3)
	v_mul_f64 v[122:123], v[78:79], v[22:23]
	v_mul_f64 v[78:79], v[78:79], v[20:21]
	s_waitcnt lgkmcnt(2)
	v_mul_f64 v[124:125], v[74:75], v[26:27]
	v_mul_f64 v[74:75], v[74:75], v[24:25]
	s_waitcnt lgkmcnt(1)
	v_mul_f64 v[126:127], v[70:71], v[30:31]
	s_waitcnt lgkmcnt(0)
	v_mul_f64 v[128:129], v[66:67], v[32:33]
	v_mul_f64 v[70:71], v[70:71], v[28:29]
	;; [unrolled: 1-line block ×4, first 2 shown]
	v_fma_f64 v[2:3], v[40:41], v[2:3], -v[112:113]
	v_fma_f64 v[6:7], v[48:49], v[6:7], -v[114:115]
	;; [unrolled: 1-line block ×5, first 2 shown]
	v_fma_f64 v[0:1], v[40:41], v[0:1], v[42:43]
	v_fma_f64 v[4:5], v[48:49], v[4:5], v[50:51]
	;; [unrolled: 1-line block ×5, first 2 shown]
	v_fma_f64 v[22:23], v[76:77], v[22:23], -v[78:79]
	v_fma_f64 v[24:25], v[72:73], v[24:25], v[124:125]
	v_fma_f64 v[26:27], v[72:73], v[26:27], -v[74:75]
	v_fma_f64 v[28:29], v[68:69], v[28:29], v[126:127]
	v_fma_f64 v[34:35], v[64:65], v[34:35], -v[128:129]
	v_fma_f64 v[30:31], v[68:69], v[30:31], -v[70:71]
	v_fma_f64 v[32:33], v[64:65], v[32:33], v[66:67]
	v_fma_f64 v[16:17], v[36:37], v[16:17], v[38:39]
	ds_read_b128 v[112:115], v160
	s_waitcnt lgkmcnt(0)
	s_barrier
	buffer_gl0_inv
	v_add_f64 v[124:125], v[2:3], -v[6:7]
	v_add_f64 v[40:41], v[6:7], v[10:11]
	v_add_f64 v[42:43], v[2:3], v[14:15]
	v_add_f64 v[122:123], v[2:3], -v[14:15]
	v_add_f64 v[126:127], v[14:15], -v[10:11]
	;; [unrolled: 1-line block ×3, first 2 shown]
	v_add_f64 v[60:61], v[4:5], v[8:9]
	v_add_f64 v[62:63], v[0:1], v[12:13]
	v_add_f64 v[64:65], v[0:1], -v[12:13]
	v_add_f64 v[66:67], v[4:5], -v[8:9]
	;; [unrolled: 1-line block ×4, first 2 shown]
	v_add_f64 v[38:39], v[24:25], v[28:29]
	v_add_f64 v[120:121], v[22:23], v[34:35]
	;; [unrolled: 1-line block ×4, first 2 shown]
	v_add_f64 v[50:51], v[32:33], -v[28:29]
	v_add_f64 v[68:69], v[20:21], v[32:33]
	v_add_f64 v[130:131], v[10:11], -v[14:15]
	v_add_f64 v[74:75], v[114:115], v[22:23]
	v_add_f64 v[2:3], v[18:19], v[2:3]
	v_add_f64 v[44:45], v[22:23], -v[34:35]
	v_add_f64 v[46:47], v[26:27], -v[30:31]
	v_fma_f64 v[40:41], v[40:41], -0.5, v[18:19]
	v_fma_f64 v[42:43], v[42:43], -0.5, v[18:19]
	v_add_f64 v[70:71], v[24:25], -v[20:21]
	v_add_f64 v[72:73], v[28:29], -v[32:33]
	;; [unrolled: 1-line block ×3, first 2 shown]
	v_fma_f64 v[60:61], v[60:61], -0.5, v[16:17]
	v_fma_f64 v[62:63], v[62:63], -0.5, v[16:17]
	v_add_f64 v[16:17], v[16:17], v[0:1]
	v_add_f64 v[78:79], v[24:25], -v[28:29]
	v_add_f64 v[140:141], v[0:1], -v[4:5]
	;; [unrolled: 1-line block ×3, first 2 shown]
	v_fma_f64 v[18:19], v[38:39], -0.5, v[112:113]
	v_add_f64 v[0:1], v[4:5], -v[0:1]
	v_add_f64 v[144:145], v[8:9], -v[12:13]
	v_add_f64 v[24:25], v[36:37], v[24:25]
	v_add_f64 v[38:39], v[48:49], v[50:51]
	v_fma_f64 v[36:37], v[68:69], -0.5, v[112:113]
	v_fma_f64 v[48:49], v[76:77], -0.5, v[114:115]
	;; [unrolled: 1-line block ×3, first 2 shown]
	v_add_f64 v[68:69], v[124:125], v[126:127]
	v_add_f64 v[76:77], v[128:129], v[130:131]
	v_add_f64 v[116:117], v[22:23], -v[26:27]
	v_fma_f64 v[136:137], v[64:65], s[2:3], v[40:41]
	v_fma_f64 v[138:139], v[66:67], s[10:11], v[42:43]
	;; [unrolled: 1-line block ×4, first 2 shown]
	v_add_f64 v[22:23], v[26:27], -v[22:23]
	v_fma_f64 v[112:113], v[122:123], s[10:11], v[60:61]
	v_fma_f64 v[114:115], v[132:133], s[2:3], v[62:63]
	;; [unrolled: 1-line block ×4, first 2 shown]
	v_add_f64 v[26:27], v[74:75], v[26:27]
	v_add_f64 v[4:5], v[16:17], v[4:5]
	v_add_f64 v[2:3], v[2:3], v[6:7]
	v_add_f64 v[118:119], v[34:35], -v[30:31]
	v_add_f64 v[16:17], v[140:141], v[142:143]
	v_fma_f64 v[6:7], v[44:45], s[10:11], v[18:19]
	v_fma_f64 v[18:19], v[44:45], s[2:3], v[18:19]
	v_add_f64 v[134:135], v[30:31], -v[34:35]
	v_add_f64 v[0:1], v[0:1], v[144:145]
	v_add_f64 v[24:25], v[24:25], v[28:29]
	v_fma_f64 v[120:121], v[66:67], s[8:9], v[136:137]
	v_fma_f64 v[124:125], v[64:65], s[8:9], v[138:139]
	;; [unrolled: 1-line block ×4, first 2 shown]
	v_add_f64 v[64:65], v[70:71], v[72:73]
	v_fma_f64 v[66:67], v[46:47], s[2:3], v[36:37]
	v_fma_f64 v[36:37], v[46:47], s[10:11], v[36:37]
	;; [unrolled: 1-line block ×10, first 2 shown]
	v_add_f64 v[26:27], v[26:27], v[30:31]
	v_add_f64 v[4:5], v[4:5], v[8:9]
	;; [unrolled: 1-line block ×3, first 2 shown]
	v_fma_f64 v[6:7], v[46:47], s[16:17], v[6:7]
	v_fma_f64 v[8:9], v[46:47], s[8:9], v[18:19]
	v_add_f64 v[22:23], v[22:23], v[134:135]
	v_add_f64 v[24:25], v[24:25], v[32:33]
	v_fma_f64 v[114:115], v[68:69], s[18:19], v[120:121]
	v_fma_f64 v[120:121], v[76:77], s[18:19], v[124:125]
	;; [unrolled: 1-line block ×4, first 2 shown]
	v_add_f64 v[68:69], v[116:117], v[118:119]
	v_fma_f64 v[10:11], v[44:45], s[16:17], v[66:67]
	v_fma_f64 v[18:19], v[44:45], s[8:9], v[36:37]
	;; [unrolled: 1-line block ×10, first 2 shown]
	v_add_f64 v[26:27], v[26:27], v[34:35]
	v_add_f64 v[12:13], v[4:5], v[12:13]
	;; [unrolled: 1-line block ×3, first 2 shown]
	v_fma_f64 v[32:33], v[38:39], s[18:19], v[6:7]
	v_fma_f64 v[34:35], v[38:39], s[18:19], v[8:9]
	v_mul_f64 v[48:49], v[114:115], s[16:17]
	v_mul_f64 v[66:67], v[114:115], s[20:21]
	;; [unrolled: 1-line block ×8, first 2 shown]
	v_fma_f64 v[72:73], v[68:69], s[18:19], v[28:29]
	v_fma_f64 v[38:39], v[64:65], s[18:19], v[10:11]
	;; [unrolled: 1-line block ×6, first 2 shown]
	v_add_f64 v[4:5], v[24:25], v[12:13]
	v_add_f64 v[6:7], v[26:27], v[2:3]
	v_add_f64 v[8:9], v[24:25], -v[12:13]
	v_add_f64 v[10:11], v[26:27], -v[2:3]
	v_fma_f64 v[28:29], v[44:45], s[20:21], v[48:49]
	v_fma_f64 v[44:45], v[44:45], s[8:9], v[66:67]
	;; [unrolled: 1-line block ×8, first 2 shown]
	v_add_f64 v[12:13], v[32:33], v[28:29]
	v_add_f64 v[14:15], v[72:73], v[44:45]
	v_add_f64 v[16:17], v[38:39], v[30:31]
	v_add_f64 v[18:19], v[74:75], v[46:47]
	v_add_f64 v[20:21], v[64:65], v[36:37]
	v_add_f64 v[22:23], v[76:77], v[42:43]
	v_add_f64 v[24:25], v[34:35], v[48:49]
	v_add_f64 v[26:27], v[68:69], v[40:41]
	v_add_f64 v[28:29], v[32:33], -v[28:29]
	v_add_f64 v[32:33], v[38:39], -v[30:31]
	;; [unrolled: 1-line block ×8, first 2 shown]
	ds_write_b128 v205, v[4:7]
	ds_write_b128 v205, v[8:11] offset:5200
	ds_write_b128 v205, v[12:15] offset:1040
	;; [unrolled: 1-line block ×9, first 2 shown]
	s_waitcnt lgkmcnt(0)
	s_barrier
	buffer_gl0_inv
	ds_read_b128 v[12:15], v160
	ds_read_b128 v[4:7], v160 offset:3120
	ds_read_b128 v[28:31], v160 offset:20800
	;; [unrolled: 1-line block ×8, first 2 shown]
	s_and_saveexec_b32 s1, s0
	s_cbranch_execz .LBB0_19
; %bb.18:
	ds_read_b128 v[0:3], v160 offset:9360
	ds_read_b128 v[108:111], v160 offset:19760
	;; [unrolled: 1-line block ×3, first 2 shown]
.LBB0_19:
	s_or_b32 exec_lo, exec_lo, s1
	s_waitcnt lgkmcnt(4)
	v_mul_f64 v[40:41], v[90:91], v[38:39]
	v_mul_f64 v[42:43], v[94:95], v[30:31]
	;; [unrolled: 1-line block ×4, first 2 shown]
	s_waitcnt lgkmcnt(2)
	v_mul_f64 v[48:49], v[82:83], v[34:35]
	v_mul_f64 v[50:51], v[86:87], v[18:19]
	v_mul_f64 v[60:61], v[82:83], v[32:33]
	v_mul_f64 v[62:63], v[86:87], v[16:17]
	s_waitcnt lgkmcnt(1)
	v_mul_f64 v[64:65], v[98:99], v[22:23]
	s_waitcnt lgkmcnt(0)
	v_mul_f64 v[66:67], v[102:103], v[26:27]
	v_mul_f64 v[68:69], v[98:99], v[20:21]
	;; [unrolled: 1-line block ×3, first 2 shown]
	s_mov_b32 s2, 0xe8584caa
	s_mov_b32 s3, 0xbfebb67a
	;; [unrolled: 1-line block ×4, first 2 shown]
	v_fma_f64 v[36:37], v[88:89], v[36:37], v[40:41]
	v_fma_f64 v[28:29], v[92:93], v[28:29], v[42:43]
	v_fma_f64 v[38:39], v[88:89], v[38:39], -v[44:45]
	v_fma_f64 v[30:31], v[92:93], v[30:31], -v[46:47]
	v_fma_f64 v[32:33], v[80:81], v[32:33], v[48:49]
	v_fma_f64 v[16:17], v[84:85], v[16:17], v[50:51]
	v_fma_f64 v[34:35], v[80:81], v[34:35], -v[60:61]
	v_fma_f64 v[18:19], v[84:85], v[18:19], -v[62:63]
	;; [unrolled: 4-line block ×3, first 2 shown]
	v_add_f64 v[60:61], v[12:13], v[36:37]
	v_add_f64 v[40:41], v[36:37], v[28:29]
	v_add_f64 v[36:37], v[36:37], -v[28:29]
	v_add_f64 v[42:43], v[38:39], v[30:31]
	v_add_f64 v[62:63], v[38:39], -v[30:31]
	v_add_f64 v[44:45], v[32:33], v[16:17]
	v_add_f64 v[38:39], v[14:15], v[38:39]
	;; [unrolled: 1-line block ×9, first 2 shown]
	v_add_f64 v[34:35], v[34:35], -v[18:19]
	v_add_f64 v[32:33], v[32:33], -v[16:17]
	;; [unrolled: 1-line block ×4, first 2 shown]
	v_fma_f64 v[40:41], v[40:41], -0.5, v[12:13]
	v_fma_f64 v[42:43], v[42:43], -0.5, v[14:15]
	;; [unrolled: 1-line block ×3, first 2 shown]
	v_add_f64 v[4:5], v[60:61], v[28:29]
	v_fma_f64 v[46:47], v[46:47], -0.5, v[6:7]
	v_add_f64 v[6:7], v[38:39], v[30:31]
	v_fma_f64 v[48:49], v[48:49], -0.5, v[8:9]
	;; [unrolled: 2-line block ×3, first 2 shown]
	v_add_f64 v[10:11], v[66:67], v[18:19]
	v_add_f64 v[12:13], v[68:69], v[24:25]
	;; [unrolled: 1-line block ×3, first 2 shown]
	v_fma_f64 v[16:17], v[62:63], s[2:3], v[40:41]
	v_fma_f64 v[20:21], v[62:63], s[8:9], v[40:41]
	;; [unrolled: 1-line block ×12, first 2 shown]
	ds_write_b128 v160, v[4:7]
	ds_write_b128 v160, v[8:11] offset:3120
	ds_write_b128 v160, v[12:15] offset:6240
	;; [unrolled: 1-line block ×8, first 2 shown]
	s_and_saveexec_b32 s1, s0
	s_cbranch_execz .LBB0_21
; %bb.20:
	v_mul_f64 v[4:5], v[54:55], v[108:109]
	v_mul_f64 v[6:7], v[58:59], v[104:105]
	;; [unrolled: 1-line block ×4, first 2 shown]
	v_fma_f64 v[4:5], v[52:53], v[110:111], -v[4:5]
	v_fma_f64 v[6:7], v[56:57], v[106:107], -v[6:7]
	v_fma_f64 v[8:9], v[52:53], v[108:109], v[8:9]
	v_fma_f64 v[10:11], v[56:57], v[104:105], v[10:11]
	v_add_f64 v[18:19], v[2:3], v[4:5]
	v_add_f64 v[12:13], v[4:5], v[6:7]
	v_add_f64 v[4:5], v[4:5], -v[6:7]
	v_add_f64 v[14:15], v[8:9], v[10:11]
	v_add_f64 v[16:17], v[8:9], -v[10:11]
	v_add_f64 v[8:9], v[0:1], v[8:9]
	v_fma_f64 v[12:13], v[12:13], -0.5, v[2:3]
	v_add_f64 v[2:3], v[18:19], v[6:7]
	v_fma_f64 v[14:15], v[14:15], -0.5, v[0:1]
	v_add_f64 v[0:1], v[8:9], v[10:11]
	v_fma_f64 v[10:11], v[16:17], s[8:9], v[12:13]
	v_fma_f64 v[6:7], v[16:17], s[2:3], v[12:13]
	;; [unrolled: 1-line block ×4, first 2 shown]
	ds_write_b128 v160, v[0:3] offset:9360
	ds_write_b128 v160, v[8:11] offset:19760
	;; [unrolled: 1-line block ×3, first 2 shown]
.LBB0_21:
	s_or_b32 exec_lo, exec_lo, s1
	s_waitcnt lgkmcnt(0)
	s_barrier
	buffer_gl0_inv
	s_and_b32 exec_lo, exec_lo, vcc_lo
	s_cbranch_execz .LBB0_23
; %bb.22:
	v_add_co_u32 v0, s0, s14, v255
	v_add_co_ci_u32_e64 v1, null, s15, 0, s0
	v_mad_u64_u32 v[52:53], null, s4, v220, 0
	v_add_co_u32 v6, vcc_lo, 0x800, v0
	v_add_co_ci_u32_e32 v7, vcc_lo, 0, v1, vcc_lo
	v_add_co_u32 v10, vcc_lo, 0x1000, v0
	v_add_co_ci_u32_e32 v11, vcc_lo, 0, v1, vcc_lo
	;; [unrolled: 2-line block ×11, first 2 shown]
	s_clause 0xb
	global_load_dwordx4 v[2:5], v255, s[14:15]
	global_load_dwordx4 v[6:9], v[6:7], off offset:352
	global_load_dwordx4 v[10:13], v[10:11], off offset:704
	;; [unrolled: 1-line block ×11, first 2 shown]
	s_clause 0x1
	buffer_load_dword v50, off, s[48:51], 0
	buffer_load_dword v51, off, s[48:51], 0 offset:4
	s_mul_i32 s0, s5, 0x960
	s_mul_hi_u32 s1, s4, 0x960
	s_mul_i32 s2, s4, 0x960
	s_add_i32 s3, s1, s0
	s_mov_b32 s0, 0xaa677344
	s_mov_b32 s1, 0x3f40cdd9
	s_waitcnt vmcnt(1)
	v_mov_b32_e32 v54, v50
	s_waitcnt vmcnt(0)
	v_mad_u64_u32 v[50:51], null, s6, v54, 0
	v_mad_u64_u32 v[54:55], null, s7, v54, v[51:52]
	;; [unrolled: 1-line block ×3, first 2 shown]
	v_mov_b32_e32 v51, v54
	v_lshlrev_b64 v[50:51], 4, v[50:51]
	v_mov_b32_e32 v53, v55
	v_lshlrev_b64 v[52:53], 4, v[52:53]
	v_add_co_u32 v50, vcc_lo, s12, v50
	v_add_co_ci_u32_e32 v51, vcc_lo, s13, v51, vcc_lo
	v_add_co_u32 v102, vcc_lo, v50, v52
	v_add_co_ci_u32_e32 v103, vcc_lo, v51, v53, vcc_lo
	ds_read_b128 v[50:53], v160
	ds_read_b128 v[54:57], v255 offset:2400
	ds_read_b128 v[58:61], v255 offset:4800
	;; [unrolled: 1-line block ×12, first 2 shown]
	v_add_co_u32 v104, vcc_lo, v102, s2
	v_add_co_ci_u32_e32 v105, vcc_lo, s3, v103, vcc_lo
	v_add_co_u32 v106, vcc_lo, v104, s2
	v_add_co_ci_u32_e32 v107, vcc_lo, s3, v105, vcc_lo
	;; [unrolled: 2-line block ×3, first 2 shown]
	s_waitcnt lgkmcnt(12)
	v_mul_f64 v[122:123], v[52:53], v[4:5]
	v_mul_f64 v[4:5], v[50:51], v[4:5]
	s_waitcnt lgkmcnt(11)
	v_mul_f64 v[124:125], v[56:57], v[8:9]
	v_mul_f64 v[8:9], v[54:55], v[8:9]
	;; [unrolled: 3-line block ×12, first 2 shown]
	v_fma_f64 v[50:51], v[50:51], v[2:3], v[122:123]
	v_fma_f64 v[4:5], v[2:3], v[52:53], -v[4:5]
	v_fma_f64 v[52:53], v[54:55], v[6:7], v[124:125]
	v_fma_f64 v[8:9], v[6:7], v[56:57], -v[8:9]
	;; [unrolled: 2-line block ×5, first 2 shown]
	v_add_co_u32 v110, vcc_lo, v108, s2
	v_fma_f64 v[60:61], v[70:71], v[22:23], v[132:133]
	v_fma_f64 v[24:25], v[22:23], v[72:73], -v[24:25]
	v_fma_f64 v[62:63], v[74:75], v[26:27], v[134:135]
	v_fma_f64 v[28:29], v[26:27], v[76:77], -v[28:29]
	v_add_co_ci_u32_e32 v111, vcc_lo, s3, v109, vcc_lo
	v_fma_f64 v[64:65], v[78:79], v[30:31], v[136:137]
	v_fma_f64 v[32:33], v[30:31], v[80:81], -v[32:33]
	v_fma_f64 v[66:67], v[82:83], v[34:35], v[138:139]
	v_fma_f64 v[36:37], v[34:35], v[84:85], -v[36:37]
	;; [unrolled: 2-line block ×3, first 2 shown]
	v_add_co_u32 v112, vcc_lo, v110, s2
	v_fma_f64 v[70:71], v[90:91], v[42:43], v[142:143]
	v_fma_f64 v[44:45], v[42:43], v[92:93], -v[44:45]
	v_fma_f64 v[72:73], v[94:95], v[46:47], v[144:145]
	v_fma_f64 v[48:49], v[46:47], v[96:97], -v[48:49]
	v_add_co_ci_u32_e32 v113, vcc_lo, s3, v111, vcc_lo
	v_add_co_u32 v114, vcc_lo, v112, s2
	v_mul_f64 v[2:3], v[50:51], s[0:1]
	v_add_co_ci_u32_e32 v115, vcc_lo, s3, v113, vcc_lo
	v_add_co_u32 v116, vcc_lo, v114, s2
	v_mul_f64 v[4:5], v[4:5], s[0:1]
	v_add_co_ci_u32_e32 v117, vcc_lo, s3, v115, vcc_lo
	v_mul_f64 v[6:7], v[52:53], s[0:1]
	v_mul_f64 v[8:9], v[8:9], s[0:1]
	v_mul_f64 v[10:11], v[54:55], s[0:1]
	v_mul_f64 v[12:13], v[12:13], s[0:1]
	v_add_co_u32 v118, vcc_lo, v116, s2
	v_mul_f64 v[14:15], v[56:57], s[0:1]
	v_mul_f64 v[16:17], v[16:17], s[0:1]
	;; [unrolled: 1-line block ×4, first 2 shown]
	v_add_co_ci_u32_e32 v119, vcc_lo, s3, v117, vcc_lo
	v_mul_f64 v[22:23], v[60:61], s[0:1]
	v_mul_f64 v[24:25], v[24:25], s[0:1]
	;; [unrolled: 1-line block ×6, first 2 shown]
	v_add_co_u32 v120, vcc_lo, v118, s2
	v_mul_f64 v[34:35], v[66:67], s[0:1]
	v_mul_f64 v[36:37], v[36:37], s[0:1]
	;; [unrolled: 1-line block ×4, first 2 shown]
	v_add_co_ci_u32_e32 v121, vcc_lo, s3, v119, vcc_lo
	v_mul_f64 v[42:43], v[70:71], s[0:1]
	v_mul_f64 v[44:45], v[44:45], s[0:1]
	;; [unrolled: 1-line block ×4, first 2 shown]
	v_add_co_u32 v50, vcc_lo, v120, s2
	v_add_co_ci_u32_e32 v51, vcc_lo, s3, v121, vcc_lo
	v_add_co_u32 v0, vcc_lo, 0x7000, v0
	v_add_co_ci_u32_e32 v1, vcc_lo, 0, v1, vcc_lo
	;; [unrolled: 2-line block ×3, first 2 shown]
	global_store_dwordx4 v[102:103], v[2:5], off
	global_store_dwordx4 v[104:105], v[6:9], off
	;; [unrolled: 1-line block ×12, first 2 shown]
	global_load_dwordx4 v[0:3], v[0:1], off offset:128
	s_waitcnt vmcnt(0) lgkmcnt(0)
	v_mul_f64 v[4:5], v[100:101], v[2:3]
	v_mul_f64 v[2:3], v[98:99], v[2:3]
	v_fma_f64 v[4:5], v[98:99], v[0:1], v[4:5]
	v_fma_f64 v[2:3], v[0:1], v[100:101], -v[2:3]
	v_mul_f64 v[0:1], v[4:5], s[0:1]
	v_mul_f64 v[2:3], v[2:3], s[0:1]
	v_add_co_u32 v4, vcc_lo, v52, s2
	v_add_co_ci_u32_e32 v5, vcc_lo, s3, v53, vcc_lo
	global_store_dwordx4 v[4:5], v[0:3], off
.LBB0_23:
	s_endpgm
	.section	.rodata,"a",@progbits
	.p2align	6, 0x0
	.amdhsa_kernel bluestein_single_back_len1950_dim1_dp_op_CI_CI
		.amdhsa_group_segment_fixed_size 31200
		.amdhsa_private_segment_fixed_size 80
		.amdhsa_kernarg_size 104
		.amdhsa_user_sgpr_count 6
		.amdhsa_user_sgpr_private_segment_buffer 1
		.amdhsa_user_sgpr_dispatch_ptr 0
		.amdhsa_user_sgpr_queue_ptr 0
		.amdhsa_user_sgpr_kernarg_segment_ptr 1
		.amdhsa_user_sgpr_dispatch_id 0
		.amdhsa_user_sgpr_flat_scratch_init 0
		.amdhsa_user_sgpr_private_segment_size 0
		.amdhsa_wavefront_size32 1
		.amdhsa_uses_dynamic_stack 0
		.amdhsa_system_sgpr_private_segment_wavefront_offset 1
		.amdhsa_system_sgpr_workgroup_id_x 1
		.amdhsa_system_sgpr_workgroup_id_y 0
		.amdhsa_system_sgpr_workgroup_id_z 0
		.amdhsa_system_sgpr_workgroup_info 0
		.amdhsa_system_vgpr_workitem_id 0
		.amdhsa_next_free_vgpr 256
		.amdhsa_next_free_sgpr 52
		.amdhsa_reserve_vcc 1
		.amdhsa_reserve_flat_scratch 0
		.amdhsa_float_round_mode_32 0
		.amdhsa_float_round_mode_16_64 0
		.amdhsa_float_denorm_mode_32 3
		.amdhsa_float_denorm_mode_16_64 3
		.amdhsa_dx10_clamp 1
		.amdhsa_ieee_mode 1
		.amdhsa_fp16_overflow 0
		.amdhsa_workgroup_processor_mode 1
		.amdhsa_memory_ordered 1
		.amdhsa_forward_progress 0
		.amdhsa_shared_vgpr_count 0
		.amdhsa_exception_fp_ieee_invalid_op 0
		.amdhsa_exception_fp_denorm_src 0
		.amdhsa_exception_fp_ieee_div_zero 0
		.amdhsa_exception_fp_ieee_overflow 0
		.amdhsa_exception_fp_ieee_underflow 0
		.amdhsa_exception_fp_ieee_inexact 0
		.amdhsa_exception_int_div_zero 0
	.end_amdhsa_kernel
	.text
.Lfunc_end0:
	.size	bluestein_single_back_len1950_dim1_dp_op_CI_CI, .Lfunc_end0-bluestein_single_back_len1950_dim1_dp_op_CI_CI
                                        ; -- End function
	.section	.AMDGPU.csdata,"",@progbits
; Kernel info:
; codeLenInByte = 21848
; NumSgprs: 54
; NumVgprs: 256
; ScratchSize: 80
; MemoryBound: 0
; FloatMode: 240
; IeeeMode: 1
; LDSByteSize: 31200 bytes/workgroup (compile time only)
; SGPRBlocks: 6
; VGPRBlocks: 31
; NumSGPRsForWavesPerEU: 54
; NumVGPRsForWavesPerEU: 256
; Occupancy: 4
; WaveLimiterHint : 1
; COMPUTE_PGM_RSRC2:SCRATCH_EN: 1
; COMPUTE_PGM_RSRC2:USER_SGPR: 6
; COMPUTE_PGM_RSRC2:TRAP_HANDLER: 0
; COMPUTE_PGM_RSRC2:TGID_X_EN: 1
; COMPUTE_PGM_RSRC2:TGID_Y_EN: 0
; COMPUTE_PGM_RSRC2:TGID_Z_EN: 0
; COMPUTE_PGM_RSRC2:TIDIG_COMP_CNT: 0
	.text
	.p2alignl 6, 3214868480
	.fill 48, 4, 3214868480
	.type	__hip_cuid_c761aa9f05637220,@object ; @__hip_cuid_c761aa9f05637220
	.section	.bss,"aw",@nobits
	.globl	__hip_cuid_c761aa9f05637220
__hip_cuid_c761aa9f05637220:
	.byte	0                               ; 0x0
	.size	__hip_cuid_c761aa9f05637220, 1

	.ident	"AMD clang version 19.0.0git (https://github.com/RadeonOpenCompute/llvm-project roc-6.4.0 25133 c7fe45cf4b819c5991fe208aaa96edf142730f1d)"
	.section	".note.GNU-stack","",@progbits
	.addrsig
	.addrsig_sym __hip_cuid_c761aa9f05637220
	.amdgpu_metadata
---
amdhsa.kernels:
  - .args:
      - .actual_access:  read_only
        .address_space:  global
        .offset:         0
        .size:           8
        .value_kind:     global_buffer
      - .actual_access:  read_only
        .address_space:  global
        .offset:         8
        .size:           8
        .value_kind:     global_buffer
      - .actual_access:  read_only
        .address_space:  global
        .offset:         16
        .size:           8
        .value_kind:     global_buffer
      - .actual_access:  read_only
        .address_space:  global
        .offset:         24
        .size:           8
        .value_kind:     global_buffer
      - .actual_access:  read_only
        .address_space:  global
        .offset:         32
        .size:           8
        .value_kind:     global_buffer
      - .offset:         40
        .size:           8
        .value_kind:     by_value
      - .address_space:  global
        .offset:         48
        .size:           8
        .value_kind:     global_buffer
      - .address_space:  global
        .offset:         56
        .size:           8
        .value_kind:     global_buffer
      - .address_space:  global
        .offset:         64
        .size:           8
        .value_kind:     global_buffer
      - .address_space:  global
        .offset:         72
        .size:           8
        .value_kind:     global_buffer
      - .offset:         80
        .size:           4
        .value_kind:     by_value
      - .address_space:  global
        .offset:         88
        .size:           8
        .value_kind:     global_buffer
      - .address_space:  global
        .offset:         96
        .size:           8
        .value_kind:     global_buffer
    .group_segment_fixed_size: 31200
    .kernarg_segment_align: 8
    .kernarg_segment_size: 104
    .language:       OpenCL C
    .language_version:
      - 2
      - 0
    .max_flat_workgroup_size: 195
    .name:           bluestein_single_back_len1950_dim1_dp_op_CI_CI
    .private_segment_fixed_size: 80
    .sgpr_count:     54
    .sgpr_spill_count: 0
    .symbol:         bluestein_single_back_len1950_dim1_dp_op_CI_CI.kd
    .uniform_work_group_size: 1
    .uses_dynamic_stack: false
    .vgpr_count:     256
    .vgpr_spill_count: 19
    .wavefront_size: 32
    .workgroup_processor_mode: 1
amdhsa.target:   amdgcn-amd-amdhsa--gfx1030
amdhsa.version:
  - 1
  - 2
...

	.end_amdgpu_metadata
